;; amdgpu-corpus repo=ROCm/rocFFT kind=compiled arch=gfx906 opt=O3
	.text
	.amdgcn_target "amdgcn-amd-amdhsa--gfx906"
	.amdhsa_code_object_version 6
	.protected	bluestein_single_back_len1666_dim1_dp_op_CI_CI ; -- Begin function bluestein_single_back_len1666_dim1_dp_op_CI_CI
	.globl	bluestein_single_back_len1666_dim1_dp_op_CI_CI
	.p2align	8
	.type	bluestein_single_back_len1666_dim1_dp_op_CI_CI,@function
bluestein_single_back_len1666_dim1_dp_op_CI_CI: ; @bluestein_single_back_len1666_dim1_dp_op_CI_CI
; %bb.0:
	s_mov_b64 s[66:67], s[2:3]
	s_mov_b64 s[64:65], s[0:1]
	s_load_dwordx4 s[0:3], s[4:5], 0x28
	v_mul_u32_u24_e32 v1, 0x227, v0
	v_add_u32_sdwa v250, s6, v1 dst_sel:DWORD dst_unused:UNUSED_PAD src0_sel:DWORD src1_sel:WORD_1
	v_mov_b32_e32 v251, 0
	s_add_u32 s64, s64, s7
	s_waitcnt lgkmcnt(0)
	v_cmp_gt_u64_e32 vcc, s[0:1], v[250:251]
	s_addc_u32 s65, s65, 0
	s_and_saveexec_b64 s[0:1], vcc
	s_cbranch_execz .LBB0_15
; %bb.1:
	s_load_dwordx2 s[12:13], s[4:5], 0x0
	s_load_dwordx2 s[14:15], s[4:5], 0x38
	s_movk_i32 s0, 0x77
	v_mul_lo_u16_sdwa v1, v1, s0 dst_sel:DWORD dst_unused:UNUSED_PAD src0_sel:WORD_1 src1_sel:DWORD
	v_sub_u16_e32 v251, v0, v1
	s_movk_i32 s0, 0x62
	v_cmp_gt_u16_e64 s[0:1], s0, v251
	v_lshlrev_b32_e32 v249, 4, v251
	s_and_saveexec_b64 s[16:17], s[0:1]
	s_cbranch_execz .LBB0_3
; %bb.2:
	s_load_dwordx2 s[6:7], s[4:5], 0x18
	s_waitcnt lgkmcnt(0)
	v_mov_b32_e32 v18, s13
	s_load_dwordx4 s[8:11], s[6:7], 0x0
	s_waitcnt lgkmcnt(0)
	v_mad_u64_u32 v[0:1], s[6:7], s10, v250, 0
	v_mad_u64_u32 v[2:3], s[6:7], s8, v251, 0
	v_mad_u64_u32 v[4:5], s[6:7], s11, v250, v[1:2]
	v_mad_u64_u32 v[5:6], s[6:7], s9, v251, v[3:4]
	v_mov_b32_e32 v1, v4
	v_lshlrev_b64 v[0:1], 4, v[0:1]
	v_mov_b32_e32 v3, v5
	v_mov_b32_e32 v6, s3
	v_lshlrev_b64 v[2:3], 4, v[2:3]
	v_add_co_u32_e32 v0, vcc, s2, v0
	v_addc_co_u32_e32 v1, vcc, v6, v1, vcc
	v_add_co_u32_e32 v16, vcc, v0, v2
	v_addc_co_u32_e32 v17, vcc, v1, v3, vcc
	global_load_dwordx4 v[0:3], v249, s[12:13]
	global_load_dwordx4 v[4:7], v[16:17], off
	v_add_co_u32_e32 v122, vcc, s12, v249
	s_movk_i32 s2, 0x1000
	s_movk_i32 s3, 0x2000
	v_addc_co_u32_e32 v123, vcc, 0, v18, vcc
	s_movk_i32 s6, 0x6000
	v_add_co_u32_e32 v42, vcc, s2, v122
	v_add_co_u32_e64 v44, s[2:3], s3, v122
	v_add_co_u32_e64 v46, s[6:7], s6, v122
	v_addc_co_u32_e32 v43, vcc, 0, v123, vcc
	v_addc_co_u32_e64 v45, vcc, 0, v123, s[2:3]
	s_mul_i32 s2, s9, 0x620
	s_mul_hi_u32 s3, s8, 0x620
	v_addc_co_u32_e64 v47, vcc, 0, v123, s[6:7]
	s_mul_i32 s6, s8, 0x620
	s_add_i32 s2, s3, s2
	global_load_dwordx4 v[8:11], v249, s[12:13] offset:1568
	global_load_dwordx4 v[12:15], v249, s[12:13] offset:3136
	global_load_dwordx4 v[18:21], v[42:43], off offset:608
	global_load_dwordx4 v[22:25], v[42:43], off offset:2176
	;; [unrolled: 1-line block ×6, first 2 shown]
	v_mov_b32_e32 v42, s2
	v_add_co_u32_e32 v16, vcc, s6, v16
	v_addc_co_u32_e32 v17, vcc, v17, v42, vcc
	v_mov_b32_e32 v47, s2
	v_add_co_u32_e32 v46, vcc, s6, v16
	v_addc_co_u32_e32 v47, vcc, v17, v47, vcc
	v_mov_b32_e32 v48, s2
	global_load_dwordx4 v[42:45], v[16:17], off
	v_add_co_u32_e32 v16, vcc, s6, v46
	v_addc_co_u32_e32 v17, vcc, v47, v48, vcc
	v_mov_b32_e32 v54, s2
	v_add_co_u32_e32 v57, vcc, s6, v16
	v_addc_co_u32_e32 v58, vcc, v17, v54, vcc
	v_mov_b32_e32 v59, s2
	global_load_dwordx4 v[46:49], v[46:47], off
	v_mov_b32_e32 v62, s2
	global_load_dwordx4 v[50:53], v[16:17], off
	v_add_co_u32_e32 v16, vcc, s6, v57
	v_addc_co_u32_e32 v17, vcc, v58, v59, vcc
	v_add_co_u32_e32 v65, vcc, s6, v16
	global_load_dwordx4 v[54:57], v[57:58], off
	v_addc_co_u32_e32 v66, vcc, v17, v62, vcc
	v_mov_b32_e32 v67, s2
	global_load_dwordx4 v[58:61], v[16:17], off
	v_add_co_u32_e32 v16, vcc, s6, v65
	v_addc_co_u32_e32 v17, vcc, v66, v67, vcc
	v_mov_b32_e32 v70, s2
	v_add_co_u32_e32 v74, vcc, s6, v16
	v_addc_co_u32_e32 v75, vcc, v17, v70, vcc
	s_movk_i32 s3, 0x3000
	global_load_dwordx4 v[62:65], v[65:66], off
	v_mov_b32_e32 v76, s2
	global_load_dwordx4 v[66:69], v[16:17], off
	v_add_co_u32_e32 v16, vcc, s3, v122
	v_addc_co_u32_e32 v17, vcc, 0, v123, vcc
	v_add_co_u32_e32 v86, vcc, s6, v74
	v_addc_co_u32_e32 v87, vcc, v75, v76, vcc
	v_mov_b32_e32 v88, s2
	v_add_co_u32_e32 v94, vcc, s6, v86
	v_addc_co_u32_e32 v95, vcc, v87, v88, vcc
	global_load_dwordx4 v[70:73], v[74:75], off
	s_nop 0
	global_load_dwordx4 v[74:77], v[86:87], off
	global_load_dwordx4 v[78:81], v[16:17], off offset:256
	global_load_dwordx4 v[82:85], v[16:17], off offset:1824
	s_nop 0
	global_load_dwordx4 v[86:89], v[94:95], off
	global_load_dwordx4 v[90:93], v[16:17], off offset:3392
	v_mov_b32_e32 v17, s2
	v_add_co_u32_e32 v16, vcc, s6, v94
	v_addc_co_u32_e32 v17, vcc, v95, v17, vcc
	s_movk_i32 s3, 0x4000
	v_add_co_u32_e32 v118, vcc, s3, v122
	v_addc_co_u32_e32 v119, vcc, 0, v123, vcc
	global_load_dwordx4 v[94:97], v[16:17], off
	v_mov_b32_e32 v98, s2
	v_add_co_u32_e32 v16, vcc, s6, v16
	v_addc_co_u32_e32 v17, vcc, v17, v98, vcc
	global_load_dwordx4 v[98:101], v[16:17], off
	global_load_dwordx4 v[102:105], v[118:119], off offset:864
	global_load_dwordx4 v[106:109], v[118:119], off offset:2432
	v_mov_b32_e32 v110, s2
	v_add_co_u32_e32 v16, vcc, s6, v16
	v_addc_co_u32_e32 v17, vcc, v17, v110, vcc
	global_load_dwordx4 v[110:113], v[16:17], off
	global_load_dwordx4 v[114:117], v[118:119], off offset:4000
	v_mov_b32_e32 v118, s2
	v_add_co_u32_e32 v16, vcc, s6, v16
	v_addc_co_u32_e32 v17, vcc, v17, v118, vcc
	s_movk_i32 s3, 0x5000
	v_add_co_u32_e32 v130, vcc, s3, v122
	v_addc_co_u32_e32 v131, vcc, 0, v123, vcc
	global_load_dwordx4 v[118:121], v[16:17], off
	v_mov_b32_e32 v122, s2
	v_add_co_u32_e32 v16, vcc, s6, v16
	v_addc_co_u32_e32 v17, vcc, v17, v122, vcc
	global_load_dwordx4 v[122:125], v[16:17], off
	global_load_dwordx4 v[126:129], v[130:131], off offset:1472
	s_nop 0
	global_load_dwordx4 v[130:133], v[130:131], off offset:3040
	v_mov_b32_e32 v134, s2
	v_add_co_u32_e32 v16, vcc, s6, v16
	v_addc_co_u32_e32 v17, vcc, v17, v134, vcc
	global_load_dwordx4 v[134:137], v[16:17], off
	s_waitcnt vmcnt(32)
	v_mul_f64 v[138:139], v[6:7], v[2:3]
	v_mul_f64 v[16:17], v[4:5], v[2:3]
	v_fma_f64 v[2:3], v[4:5], v[0:1], v[138:139]
	v_fma_f64 v[4:5], v[6:7], v[0:1], -v[16:17]
	s_waitcnt vmcnt(23)
	v_mul_f64 v[0:1], v[44:45], v[10:11]
	s_waitcnt vmcnt(22)
	v_mul_f64 v[6:7], v[46:47], v[14:15]
	;; [unrolled: 2-line block ×3, first 2 shown]
	ds_write_b128 v249, v[2:5]
	v_mul_f64 v[2:3], v[42:43], v[10:11]
	v_mul_f64 v[4:5], v[48:49], v[14:15]
	;; [unrolled: 1-line block ×5, first 2 shown]
	v_fma_f64 v[0:1], v[42:43], v[8:9], v[0:1]
	v_fma_f64 v[6:7], v[48:49], v[12:13], -v[6:7]
	s_waitcnt vmcnt(17)
	v_mul_f64 v[24:25], v[68:69], v[36:37]
	v_fma_f64 v[2:3], v[44:45], v[8:9], -v[2:3]
	v_fma_f64 v[4:5], v[46:47], v[12:13], v[4:5]
	v_fma_f64 v[8:9], v[50:51], v[18:19], v[10:11]
	v_fma_f64 v[10:11], v[52:53], v[18:19], -v[14:15]
	v_fma_f64 v[12:13], v[54:55], v[22:23], v[16:17]
	v_mul_f64 v[16:17], v[60:61], v[28:29]
	v_mul_f64 v[18:19], v[58:59], v[28:29]
	v_fma_f64 v[14:15], v[56:57], v[22:23], -v[20:21]
	v_mul_f64 v[20:21], v[64:65], v[32:33]
	v_mul_f64 v[22:23], v[62:63], v[32:33]
	;; [unrolled: 1-line block ×3, first 2 shown]
	s_waitcnt vmcnt(14)
	v_mul_f64 v[32:33], v[72:73], v[80:81]
	v_mul_f64 v[36:37], v[70:71], v[80:81]
	v_fma_f64 v[16:17], v[58:59], v[26:27], v[16:17]
	v_fma_f64 v[18:19], v[60:61], v[26:27], -v[18:19]
	v_fma_f64 v[24:25], v[66:67], v[34:35], v[24:25]
	v_fma_f64 v[20:21], v[62:63], v[30:31], v[20:21]
	v_fma_f64 v[22:23], v[64:65], v[30:31], -v[22:23]
	v_fma_f64 v[26:27], v[68:69], v[34:35], -v[28:29]
	v_fma_f64 v[28:29], v[70:71], v[78:79], v[32:33]
	v_fma_f64 v[30:31], v[72:73], v[78:79], -v[36:37]
	ds_write_b128 v249, v[0:3] offset:1568
	ds_write_b128 v249, v[4:7] offset:3136
	;; [unrolled: 1-line block ×8, first 2 shown]
	s_waitcnt vmcnt(13)
	v_mul_f64 v[0:1], v[76:77], v[84:85]
	v_mul_f64 v[2:3], v[74:75], v[84:85]
	s_waitcnt vmcnt(11)
	v_mul_f64 v[4:5], v[88:89], v[92:93]
	v_mul_f64 v[6:7], v[86:87], v[92:93]
	;; [unrolled: 3-line block ×5, first 2 shown]
	v_fma_f64 v[0:1], v[74:75], v[82:83], v[0:1]
	v_fma_f64 v[2:3], v[76:77], v[82:83], -v[2:3]
	v_fma_f64 v[4:5], v[86:87], v[90:91], v[4:5]
	v_fma_f64 v[6:7], v[88:89], v[90:91], -v[6:7]
	;; [unrolled: 2-line block ×5, first 2 shown]
	s_waitcnt vmcnt(2)
	v_mul_f64 v[20:21], v[120:121], v[128:129]
	v_mul_f64 v[22:23], v[118:119], v[128:129]
	s_waitcnt vmcnt(1)
	v_mul_f64 v[24:25], v[124:125], v[132:133]
	v_mul_f64 v[26:27], v[122:123], v[132:133]
	;; [unrolled: 3-line block ×3, first 2 shown]
	v_fma_f64 v[20:21], v[118:119], v[126:127], v[20:21]
	v_fma_f64 v[22:23], v[120:121], v[126:127], -v[22:23]
	v_fma_f64 v[24:25], v[122:123], v[130:131], v[24:25]
	v_fma_f64 v[26:27], v[124:125], v[130:131], -v[26:27]
	;; [unrolled: 2-line block ×3, first 2 shown]
	ds_write_b128 v249, v[0:3] offset:14112
	ds_write_b128 v249, v[4:7] offset:15680
	;; [unrolled: 1-line block ×8, first 2 shown]
.LBB0_3:
	s_or_b64 exec, exec, s[16:17]
	s_load_dwordx2 s[6:7], s[4:5], 0x20
	s_load_dwordx2 s[2:3], s[4:5], 0x8
	s_waitcnt lgkmcnt(0)
	s_barrier
	s_waitcnt lgkmcnt(0)
                                        ; implicit-def: $vgpr12_vgpr13
                                        ; implicit-def: $vgpr72_vgpr73
                                        ; implicit-def: $vgpr76_vgpr77
                                        ; implicit-def: $vgpr68_vgpr69
                                        ; implicit-def: $vgpr64_vgpr65
                                        ; implicit-def: $vgpr60_vgpr61
                                        ; implicit-def: $vgpr16_vgpr17
                                        ; implicit-def: $vgpr20_vgpr21
                                        ; implicit-def: $vgpr24_vgpr25
                                        ; implicit-def: $vgpr28_vgpr29
                                        ; implicit-def: $vgpr32_vgpr33
                                        ; implicit-def: $vgpr36_vgpr37
                                        ; implicit-def: $vgpr40_vgpr41
                                        ; implicit-def: $vgpr44_vgpr45
                                        ; implicit-def: $vgpr48_vgpr49
                                        ; implicit-def: $vgpr52_vgpr53
                                        ; implicit-def: $vgpr56_vgpr57
	s_and_saveexec_b64 s[4:5], s[0:1]
	s_cbranch_execz .LBB0_5
; %bb.4:
	ds_read_b128 v[12:15], v249
	ds_read_b128 v[72:75], v249 offset:1568
	ds_read_b128 v[76:79], v249 offset:3136
	;; [unrolled: 1-line block ×16, first 2 shown]
.LBB0_5:
	s_or_b64 exec, exec, s[4:5]
	s_waitcnt lgkmcnt(0)
	v_add_f64 v[132:133], v[74:75], -v[58:59]
	s_mov_b32 s22, 0x5d8e7cdc
	s_mov_b32 s23, 0xbfd71e95
	v_add_f64 v[110:111], v[72:73], v[56:57]
	v_add_f64 v[118:119], v[72:73], -v[56:57]
	v_add_f64 v[154:155], v[78:79], -v[54:55]
	s_mov_b32 s4, 0x370991
	s_mov_b32 s18, 0x2a9d6da3
	v_mul_f64 v[90:91], v[132:133], s[22:23]
	s_mov_b32 s5, 0x3fedd6d0
	s_mov_b32 s19, 0xbfe58eea
	v_add_f64 v[112:113], v[74:75], v[58:59]
	v_mul_f64 v[92:93], v[118:119], s[22:23]
	v_add_f64 v[126:127], v[76:77], v[52:53]
	v_add_f64 v[150:151], v[76:77], -v[52:53]
	v_mul_f64 v[96:97], v[154:155], s[18:19]
	v_fma_f64 v[0:1], v[110:111], s[4:5], v[90:91]
	s_mov_b32 s8, 0x75d4884
	s_mov_b32 s9, 0x3fe7a5f6
	v_mul_f64 v[94:95], v[132:133], s[18:19]
	v_fma_f64 v[2:3], v[112:113], s[4:5], -v[92:93]
	v_add_f64 v[130:131], v[78:79], v[54:55]
	v_mul_f64 v[98:99], v[150:151], s[18:19]
	v_fma_f64 v[80:81], v[126:127], s[8:9], v[96:97]
	v_add_f64 v[0:1], v[12:13], v[0:1]
	s_mov_b32 s28, 0xeb564b22
	s_mov_b32 s29, 0xbfefdd0d
	v_mul_f64 v[100:101], v[118:119], s[18:19]
	v_add_f64 v[2:3], v[14:15], v[2:3]
	v_fma_f64 v[4:5], v[110:111], s[8:9], v[94:95]
	v_mul_f64 v[102:103], v[154:155], s[28:29]
	s_mov_b32 s24, 0x7c9e640b
	v_add_f64 v[0:1], v[80:81], v[0:1]
	v_fma_f64 v[80:81], v[130:131], s[8:9], -v[98:99]
	s_mov_b32 s16, 0x3259b75e
	s_mov_b32 s25, 0xbfeca52d
	;; [unrolled: 1-line block ×3, first 2 shown]
	v_add_f64 v[4:5], v[12:13], v[4:5]
	v_fma_f64 v[6:7], v[112:113], s[8:9], -v[100:101]
	v_mul_f64 v[104:105], v[132:133], s[24:25]
	v_mul_f64 v[116:117], v[150:151], s[28:29]
	v_add_f64 v[2:3], v[80:81], v[2:3]
	v_fma_f64 v[80:81], v[126:127], s[16:17], v[102:103]
	s_mov_b32 s10, 0x2b2883cd
	s_mov_b32 s30, 0x6c9a05f6
	s_mov_b32 s11, 0x3fdc86fa
	s_mov_b32 s31, 0xbfe9895b
	v_add_f64 v[6:7], v[14:15], v[6:7]
	v_mul_f64 v[120:121], v[118:119], s[24:25]
	v_fma_f64 v[8:9], v[110:111], s[10:11], v[104:105]
	v_add_f64 v[4:5], v[80:81], v[4:5]
	v_fma_f64 v[80:81], v[130:131], s[16:17], -v[116:117]
	v_mul_f64 v[122:123], v[154:155], s[30:31]
	s_mov_b32 s20, 0x6ed5f1bb
	s_mov_b32 s21, 0xbfe348c8
	v_mul_f64 v[158:159], v[150:151], s[30:31]
	v_fma_f64 v[10:11], v[112:113], s[10:11], -v[120:121]
	v_add_f64 v[8:9], v[12:13], v[8:9]
	v_add_f64 v[176:177], v[70:71], -v[50:51]
	v_add_f64 v[6:7], v[80:81], v[6:7]
	v_fma_f64 v[80:81], v[126:127], s[20:21], v[122:123]
	v_add_f64 v[144:145], v[68:69], v[48:49]
	v_add_f64 v[168:169], v[68:69], -v[48:49]
	v_add_f64 v[146:147], v[70:71], v[50:51]
	v_add_f64 v[10:11], v[14:15], v[10:11]
	s_mov_b32 s38, 0xacd6c6b4
	v_mul_f64 v[106:107], v[176:177], s[24:25]
	v_mul_f64 v[114:115], v[176:177], s[30:31]
	v_add_f64 v[8:9], v[80:81], v[8:9]
	v_fma_f64 v[80:81], v[130:131], s[20:21], -v[158:159]
	v_mul_f64 v[108:109], v[168:169], s[24:25]
	v_mul_f64 v[152:153], v[168:169], s[30:31]
	s_mov_b32 s39, 0x3fc7851a
	v_mul_f64 v[156:157], v[176:177], s[38:39]
	s_mov_b32 s26, 0x7faef3
	s_mov_b32 s27, 0xbfef7484
	v_mul_f64 v[174:175], v[168:169], s[38:39]
	v_add_f64 v[10:11], v[80:81], v[10:11]
	v_fma_f64 v[80:81], v[144:145], s[10:11], v[106:107]
	v_add_f64 v[198:199], v[66:67], -v[46:47]
	v_add_f64 v[162:163], v[64:65], v[44:45]
	v_add_f64 v[186:187], v[64:65], -v[44:45]
	v_add_f64 v[164:165], v[66:67], v[46:47]
	s_mov_b32 s45, 0xbfc7851a
	s_mov_b32 s44, s38
	;; [unrolled: 1-line block ×3, first 2 shown]
	v_add_f64 v[0:1], v[80:81], v[0:1]
	v_fma_f64 v[80:81], v[146:147], s[10:11], -v[108:109]
	v_mul_f64 v[124:125], v[198:199], s[28:29]
	v_mul_f64 v[142:143], v[186:187], s[28:29]
	;; [unrolled: 1-line block ×4, first 2 shown]
	s_mov_b32 s47, 0x3feec746
	s_mov_b32 s34, 0xc61f0d01
	;; [unrolled: 1-line block ×3, first 2 shown]
	v_add_f64 v[2:3], v[80:81], v[2:3]
	v_fma_f64 v[80:81], v[144:145], s[20:21], v[114:115]
	v_mul_f64 v[192:193], v[186:187], s[46:47]
	v_add_f64 v[231:232], v[62:63], -v[42:43]
	s_mov_b32 s49, 0xbfeec746
	s_mov_b32 s48, s46
	v_add_f64 v[182:183], v[60:61], v[40:41]
	v_add_f64 v[214:215], v[60:61], -v[40:41]
	v_add_f64 v[184:185], v[62:63], v[42:43]
	v_add_f64 v[4:5], v[80:81], v[4:5]
	v_fma_f64 v[80:81], v[146:147], s[20:21], -v[152:153]
	v_mul_f64 v[160:161], v[231:232], s[48:49]
	s_mov_b32 s50, 0x4363dd80
	s_mov_b32 s51, 0x3fe0d888
	v_mul_f64 v[172:173], v[231:232], s[50:51]
	v_mul_f64 v[166:167], v[214:215], s[48:49]
	s_mov_b32 s36, 0x910ea3b9
	s_mov_b32 s37, 0xbfeb34fa
	v_add_f64 v[6:7], v[80:81], v[6:7]
	v_fma_f64 v[80:81], v[144:145], s[26:27], v[156:157]
	v_mul_f64 v[188:189], v[214:215], s[50:51]
	s_mov_b32 s41, 0x3fe58eea
	s_mov_b32 s40, s18
	v_mul_f64 v[226:227], v[214:215], s[40:41]
	v_add_f64 v[206:207], v[16:17], v[36:37]
	v_add_f64 v[239:240], v[16:17], -v[36:37]
	v_add_f64 v[208:209], v[18:19], v[38:39]
	v_add_f64 v[8:9], v[80:81], v[8:9]
	v_fma_f64 v[80:81], v[146:147], s[26:27], -v[174:175]
	v_add_f64 v[245:246], v[22:23], -v[34:35]
	s_mov_b32 s53, 0xbfe0d888
	s_mov_b32 s52, s50
	v_add_f64 v[224:225], v[20:21], v[32:33]
	v_mul_f64 v[180:181], v[239:240], s[30:31]
	v_mul_f64 v[200:201], v[239:240], s[46:47]
	;; [unrolled: 1-line block ×3, first 2 shown]
	v_add_f64 v[10:11], v[80:81], v[10:11]
	v_fma_f64 v[80:81], v[162:163], s[16:17], v[124:125]
	v_add_f64 v[243:244], v[20:21], -v[32:33]
	v_mul_f64 v[194:195], v[245:246], s[52:53]
	v_add_f64 v[229:230], v[22:23], v[34:35]
	s_mov_b32 s55, 0x3feca52d
	s_mov_b32 s54, s24
	v_mul_f64 v[204:205], v[245:246], s[54:55]
	v_mul_f64 v[220:221], v[245:246], s[28:29]
	v_add_f64 v[80:81], v[80:81], v[0:1]
	v_fma_f64 v[0:1], v[164:165], s[16:17], -v[142:143]
	v_mul_f64 v[196:197], v[243:244], s[52:53]
	v_mul_f64 v[218:219], v[243:244], s[54:55]
	;; [unrolled: 1-line block ×3, first 2 shown]
	v_add_f64 v[235:236], v[24:25], v[28:29]
	v_add_f64 v[247:248], v[24:25], -v[28:29]
	v_add_f64 v[237:238], v[26:27], v[30:31]
	s_mov_b32 s57, 0x3fd71e95
	v_add_f64 v[2:3], v[0:1], v[2:3]
	v_fma_f64 v[0:1], v[162:163], s[26:27], v[148:149]
	s_mov_b32 s56, s22
	v_mul_f64 v[222:223], v[247:248], s[44:45]
	v_mul_f64 v[212:213], v[247:248], s[56:57]
	v_add_f64 v[4:5], v[0:1], v[4:5]
	v_fma_f64 v[0:1], v[164:165], s[26:27], -v[170:171]
	v_add_f64 v[6:7], v[0:1], v[6:7]
	v_mul_f64 v[0:1], v[198:199], s[46:47]
	v_fma_f64 v[82:83], v[162:163], s[34:35], v[0:1]
	v_add_f64 v[8:9], v[82:83], v[8:9]
	v_fma_f64 v[82:83], v[164:165], s[34:35], -v[192:193]
	v_add_f64 v[10:11], v[82:83], v[10:11]
	v_fma_f64 v[82:83], v[182:183], s[34:35], v[160:161]
	v_add_f64 v[80:81], v[82:83], v[80:81]
	v_fma_f64 v[82:83], v[184:185], s[34:35], -v[166:167]
	v_add_f64 v[82:83], v[82:83], v[2:3]
	;; [unrolled: 4-line block ×3, first 2 shown]
	v_mul_f64 v[2:3], v[231:232], s[40:41]
	v_fma_f64 v[84:85], v[182:183], s[8:9], v[2:3]
	v_add_f64 v[8:9], v[84:85], v[8:9]
	v_fma_f64 v[84:85], v[184:185], s[8:9], -v[226:227]
	v_add_f64 v[84:85], v[84:85], v[10:11]
	v_add_f64 v[10:11], v[18:19], -v[38:39]
	v_mul_f64 v[178:179], v[10:11], s[30:31]
	v_mul_f64 v[190:191], v[10:11], s[46:47]
	;; [unrolled: 1-line block ×3, first 2 shown]
	v_fma_f64 v[86:87], v[206:207], s[20:21], v[178:179]
	v_add_f64 v[80:81], v[86:87], v[80:81]
	v_fma_f64 v[86:87], v[208:209], s[20:21], -v[180:181]
	v_add_f64 v[82:83], v[86:87], v[82:83]
	v_fma_f64 v[86:87], v[206:207], s[34:35], v[190:191]
	v_add_f64 v[4:5], v[86:87], v[4:5]
	v_fma_f64 v[86:87], v[208:209], s[34:35], -v[200:201]
	v_add_f64 v[6:7], v[86:87], v[6:7]
	;; [unrolled: 4-line block ×6, first 2 shown]
	v_add_f64 v[6:7], v[26:27], -v[30:31]
	v_mul_f64 v[216:217], v[6:7], s[44:45]
	v_mul_f64 v[233:234], v[6:7], s[56:57]
	v_fma_f64 v[8:9], v[235:236], s[26:27], v[216:217]
	v_add_f64 v[80:81], v[8:9], v[80:81]
	v_fma_f64 v[8:9], v[237:238], s[26:27], -v[222:223]
	v_add_f64 v[82:83], v[8:9], v[82:83]
	v_fma_f64 v[8:9], v[235:236], s[4:5], v[233:234]
	buffer_store_dword v80, off, s[64:67], 0 ; 4-byte Folded Spill
	s_nop 0
	buffer_store_dword v81, off, s[64:67], 0 offset:4 ; 4-byte Folded Spill
	buffer_store_dword v82, off, s[64:67], 0 offset:8 ; 4-byte Folded Spill
	;; [unrolled: 1-line block ×3, first 2 shown]
	v_add_f64 v[80:81], v[8:9], v[4:5]
	v_fma_f64 v[4:5], v[237:238], s[4:5], -v[212:213]
	v_mul_f64 v[8:9], v[247:248], s[52:53]
	v_add_f64 v[82:83], v[4:5], v[86:87]
	v_mul_f64 v[4:5], v[6:7], s[52:53]
	buffer_store_dword v80, off, s[64:67], 0 offset:16 ; 4-byte Folded Spill
	s_nop 0
	buffer_store_dword v81, off, s[64:67], 0 offset:20 ; 4-byte Folded Spill
	buffer_store_dword v82, off, s[64:67], 0 offset:24 ; 4-byte Folded Spill
	;; [unrolled: 1-line block ×3, first 2 shown]
	v_fma_f64 v[80:81], v[235:236], s[36:37], v[4:5]
	v_add_f64 v[82:83], v[80:81], v[88:89]
	v_fma_f64 v[80:81], v[237:238], s[36:37], -v[8:9]
	v_add_f64 v[84:85], v[80:81], v[84:85]
	buffer_store_dword v82, off, s[64:67], 0 offset:32 ; 4-byte Folded Spill
	s_nop 0
	buffer_store_dword v83, off, s[64:67], 0 offset:36 ; 4-byte Folded Spill
	buffer_store_dword v84, off, s[64:67], 0 offset:40 ; 4-byte Folded Spill
	;; [unrolled: 1-line block ×3, first 2 shown]
	s_waitcnt vmcnt(0)
	s_barrier
	s_and_saveexec_b64 s[42:43], s[0:1]
	s_cbranch_execz .LBB0_7
; %bb.6:
	v_mul_f64 v[84:85], v[112:113], s[26:27]
	v_mul_f64 v[86:87], v[130:131], s[4:5]
	v_mul_f64 v[88:89], v[132:133], s[44:45]
	buffer_store_dword v90, off, s[64:67], 0 offset:48 ; 4-byte Folded Spill
	s_nop 0
	buffer_store_dword v91, off, s[64:67], 0 offset:52 ; 4-byte Folded Spill
	v_mul_f64 v[90:91], v[154:155], s[56:57]
	buffer_store_dword v92, off, s[64:67], 0 offset:72 ; 4-byte Folded Spill
	s_nop 0
	buffer_store_dword v93, off, s[64:67], 0 offset:76 ; 4-byte Folded Spill
	buffer_store_dword v94, off, s[64:67], 0 offset:64 ; 4-byte Folded Spill
	s_nop 0
	buffer_store_dword v95, off, s[64:67], 0 offset:68 ; 4-byte Folded Spill
	;; [unrolled: 3-line block ×3, first 2 shown]
	v_fma_f64 v[80:81], v[118:119], s[38:39], v[84:85]
	v_fma_f64 v[82:83], v[150:151], s[22:23], v[86:87]
	buffer_store_dword v98, off, s[64:67], 0 offset:88 ; 4-byte Folded Spill
	s_nop 0
	buffer_store_dword v99, off, s[64:67], 0 offset:92 ; 4-byte Folded Spill
	v_mov_b32_e32 v228, v249
	v_fma_f64 v[92:93], v[126:127], s[4:5], v[90:91]
	v_mov_b32_e32 v140, v250
	v_fma_f64 v[84:85], v[118:119], s[44:45], v[84:85]
	s_mov_b32 s59, 0x3fe9895b
	v_add_f64 v[80:81], v[14:15], v[80:81]
	s_mov_b32 s58, s30
	v_mov_b32_e32 v141, v251
	v_fma_f64 v[86:87], v[150:151], s[56:57], v[86:87]
	buffer_store_dword v100, off, s[64:67], 0 offset:160 ; 4-byte Folded Spill
	s_nop 0
	buffer_store_dword v101, off, s[64:67], 0 offset:164 ; 4-byte Folded Spill
	buffer_store_dword v102, off, s[64:67], 0 offset:112 ; 4-byte Folded Spill
	s_nop 0
	buffer_store_dword v103, off, s[64:67], 0 offset:116 ; 4-byte Folded Spill
	v_add_f64 v[84:85], v[14:15], v[84:85]
	buffer_store_dword v104, off, s[64:67], 0 offset:192 ; 4-byte Folded Spill
	s_nop 0
	buffer_store_dword v105, off, s[64:67], 0 offset:196 ; 4-byte Folded Spill
	v_add_f64 v[80:81], v[82:83], v[80:81]
	v_fma_f64 v[82:83], v[110:111], s[26:27], v[88:89]
	buffer_store_dword v106, off, s[64:67], 0 offset:104 ; 4-byte Folded Spill
	s_nop 0
	buffer_store_dword v107, off, s[64:67], 0 offset:108 ; 4-byte Folded Spill
	s_mov_b32 s61, 0x3fefdd0d
	s_mov_b32 s60, s28
	buffer_store_dword v108, off, s[64:67], 0 offset:128 ; 4-byte Folded Spill
	s_nop 0
	buffer_store_dword v109, off, s[64:67], 0 offset:132 ; 4-byte Folded Spill
	v_add_f64 v[84:85], v[86:87], v[84:85]
	v_fma_f64 v[86:87], v[110:111], s[26:27], -v[88:89]
	v_fma_f64 v[88:89], v[126:127], s[4:5], -v[90:91]
	v_add_f64 v[82:83], v[12:13], v[82:83]
	buffer_store_dword v114, off, s[64:67], 0 offset:144 ; 4-byte Folded Spill
	s_nop 0
	buffer_store_dword v115, off, s[64:67], 0 offset:148 ; 4-byte Folded Spill
	v_mul_f64 v[108:109], v[237:238], s[16:17]
	v_mul_f64 v[114:115], v[6:7], s[60:61]
	buffer_store_dword v116, off, s[64:67], 0 offset:208 ; 4-byte Folded Spill
	s_nop 0
	buffer_store_dword v117, off, s[64:67], 0 offset:212 ; 4-byte Folded Spill
	buffer_store_dword v120, off, s[64:67], 0 offset:240 ; 4-byte Folded Spill
	s_nop 0
	buffer_store_dword v121, off, s[64:67], 0 offset:244 ; 4-byte Folded Spill
	v_add_f64 v[86:87], v[12:13], v[86:87]
	buffer_store_dword v122, off, s[64:67], 0 offset:224 ; 4-byte Folded Spill
	s_nop 0
	buffer_store_dword v123, off, s[64:67], 0 offset:228 ; 4-byte Folded Spill
	v_add_f64 v[82:83], v[92:93], v[82:83]
	v_mul_f64 v[92:93], v[146:147], s[36:37]
	buffer_store_dword v124, off, s[64:67], 0 offset:176 ; 4-byte Folded Spill
	s_nop 0
	buffer_store_dword v125, off, s[64:67], 0 offset:180 ; 4-byte Folded Spill
	v_fma_f64 v[90:91], v[235:236], s[16:17], -v[114:115]
	v_mul_f64 v[122:123], v[237:238], s[34:35]
	v_mul_f64 v[124:125], v[6:7], s[48:49]
	v_add_f64 v[86:87], v[88:89], v[86:87]
	v_add_f64 v[72:73], v[12:13], v[72:73]
	;; [unrolled: 1-line block ×3, first 2 shown]
	v_fma_f64 v[94:95], v[168:169], s[50:51], v[92:93]
	v_fma_f64 v[88:89], v[168:169], s[52:53], v[92:93]
	v_mul_f64 v[92:93], v[112:113], s[36:37]
	v_mul_f64 v[136:137], v[237:238], s[10:11]
	;; [unrolled: 1-line block ×3, first 2 shown]
	v_add_f64 v[76:77], v[72:73], v[76:77]
	v_add_f64 v[78:79], v[74:75], v[78:79]
	;; [unrolled: 1-line block ×3, first 2 shown]
	v_mul_f64 v[94:95], v[176:177], s[52:53]
	v_add_f64 v[84:85], v[88:89], v[84:85]
	v_add_f64 v[76:77], v[76:77], v[68:69]
	;; [unrolled: 1-line block ×3, first 2 shown]
	v_fma_f64 v[96:97], v[144:145], s[36:37], v[94:95]
	v_fma_f64 v[88:89], v[144:145], s[36:37], -v[94:95]
	v_mul_f64 v[94:95], v[130:131], s[10:11]
	v_add_f64 v[76:77], v[76:77], v[64:65]
	v_add_f64 v[78:79], v[78:79], v[66:67]
	;; [unrolled: 1-line block ×3, first 2 shown]
	v_mul_f64 v[96:97], v[164:165], s[8:9]
	v_add_f64 v[86:87], v[88:89], v[86:87]
	v_add_f64 v[60:61], v[76:77], v[60:61]
	v_mul_f64 v[76:77], v[112:113], s[16:17]
	v_add_f64 v[62:63], v[78:79], v[62:63]
	v_fma_f64 v[98:99], v[186:187], s[18:19], v[96:97]
	v_fma_f64 v[88:89], v[186:187], s[40:41], v[96:97]
	v_mul_f64 v[96:97], v[146:147], s[16:17]
	v_add_f64 v[16:17], v[60:61], v[16:17]
	v_fma_f64 v[78:79], v[118:119], s[60:61], v[76:77]
	v_fma_f64 v[76:77], v[118:119], s[28:29], v[76:77]
	v_add_f64 v[18:19], v[62:63], v[18:19]
	v_add_f64 v[80:81], v[98:99], v[80:81]
	v_mul_f64 v[98:99], v[198:199], s[40:41]
	v_add_f64 v[84:85], v[88:89], v[84:85]
	v_add_f64 v[16:17], v[16:17], v[20:21]
	;; [unrolled: 1-line block ×5, first 2 shown]
	v_fma_f64 v[249:250], v[162:163], s[8:9], v[98:99]
	v_add_f64 v[16:17], v[16:17], v[24:25]
	v_add_f64 v[18:19], v[18:19], v[26:27]
	v_add_f64 v[82:83], v[249:250], v[82:83]
	v_mul_f64 v[249:250], v[184:185], s[20:21]
	v_add_f64 v[16:17], v[16:17], v[28:29]
	v_add_f64 v[18:19], v[18:19], v[30:31]
	v_fma_f64 v[251:252], v[214:215], s[58:59], v[249:250]
	v_fma_f64 v[88:89], v[214:215], s[30:31], v[249:250]
	v_add_f64 v[16:17], v[16:17], v[32:33]
	v_add_f64 v[18:19], v[18:19], v[34:35]
	;; [unrolled: 1-line block ×3, first 2 shown]
	v_mul_f64 v[251:252], v[231:232], s[30:31]
	v_add_f64 v[84:85], v[88:89], v[84:85]
	v_add_f64 v[16:17], v[16:17], v[36:37]
	;; [unrolled: 1-line block ×3, first 2 shown]
	v_fma_f64 v[253:254], v[182:183], s[20:21], v[251:252]
	v_add_f64 v[16:17], v[16:17], v[40:41]
	v_add_f64 v[18:19], v[18:19], v[42:43]
	;; [unrolled: 1-line block ×3, first 2 shown]
	v_mul_f64 v[253:254], v[208:209], s[10:11]
	v_add_f64 v[16:17], v[16:17], v[44:45]
	v_add_f64 v[18:19], v[18:19], v[46:47]
	v_fma_f64 v[100:101], v[239:240], s[24:25], v[253:254]
	v_fma_f64 v[88:89], v[239:240], s[54:55], v[253:254]
	v_add_f64 v[16:17], v[16:17], v[48:49]
	v_add_f64 v[18:19], v[18:19], v[50:51]
	;; [unrolled: 1-line block ×3, first 2 shown]
	v_mul_f64 v[100:101], v[10:11], s[54:55]
	v_add_f64 v[84:85], v[88:89], v[84:85]
	v_add_f64 v[36:37], v[18:19], v[54:55]
	;; [unrolled: 1-line block ×3, first 2 shown]
	v_fma_f64 v[102:103], v[206:207], s[10:11], v[100:101]
	v_add_f64 v[82:83], v[102:103], v[82:83]
	v_mul_f64 v[102:103], v[229:230], s[34:35]
	v_fma_f64 v[88:89], v[243:244], s[48:49], v[102:103]
	v_fma_f64 v[104:105], v[243:244], s[46:47], v[102:103]
	v_mul_f64 v[102:103], v[208:209], s[26:27]
	v_add_f64 v[84:85], v[88:89], v[84:85]
	v_fma_f64 v[88:89], v[162:163], s[8:9], -v[98:99]
	v_add_f64 v[80:81], v[104:105], v[80:81]
	v_mul_f64 v[104:105], v[245:246], s[48:49]
	v_mul_f64 v[98:99], v[164:165], s[20:21]
	v_add_f64 v[86:87], v[88:89], v[86:87]
	v_fma_f64 v[88:89], v[182:183], s[20:21], -v[251:252]
	v_fma_f64 v[106:107], v[224:225], s[34:35], v[104:105]
	v_add_f64 v[86:87], v[88:89], v[86:87]
	v_fma_f64 v[88:89], v[206:207], s[10:11], -v[100:101]
	v_mul_f64 v[100:101], v[184:185], s[4:5]
	v_add_f64 v[106:107], v[106:107], v[82:83]
	v_fma_f64 v[82:83], v[247:248], s[28:29], v[108:109]
	v_add_f64 v[86:87], v[88:89], v[86:87]
	v_fma_f64 v[88:89], v[224:225], s[34:35], -v[104:105]
	v_mul_f64 v[104:105], v[229:230], s[8:9]
	v_add_f64 v[82:83], v[82:83], v[80:81]
	v_fma_f64 v[80:81], v[235:236], s[16:17], v[114:115]
	v_add_f64 v[88:89], v[88:89], v[86:87]
	v_fma_f64 v[86:87], v[247:248], s[60:61], v[108:109]
	v_mul_f64 v[108:109], v[154:155], s[54:55]
	v_add_f64 v[80:81], v[80:81], v[106:107]
	v_mul_f64 v[106:107], v[132:133], s[52:53]
	v_add_f64 v[86:87], v[86:87], v[84:85]
	v_add_f64 v[84:85], v[90:91], v[88:89]
	v_fma_f64 v[88:89], v[118:119], s[50:51], v[92:93]
	v_fma_f64 v[90:91], v[150:151], s[24:25], v[94:95]
	;; [unrolled: 1-line block ×5, first 2 shown]
	v_add_f64 v[88:89], v[14:15], v[88:89]
	v_add_f64 v[92:93], v[14:15], v[92:93]
	;; [unrolled: 1-line block ×3, first 2 shown]
	v_fma_f64 v[90:91], v[168:169], s[60:61], v[96:97]
	v_add_f64 v[92:93], v[94:95], v[92:93]
	v_fma_f64 v[94:95], v[168:169], s[28:29], v[96:97]
	v_fma_f64 v[96:97], v[126:127], s[10:11], -v[108:109]
	v_mul_f64 v[108:109], v[184:185], s[16:17]
	v_add_f64 v[88:89], v[90:91], v[88:89]
	v_fma_f64 v[90:91], v[186:187], s[30:31], v[98:99]
	v_add_f64 v[92:93], v[94:95], v[92:93]
	v_fma_f64 v[94:95], v[186:187], s[58:59], v[98:99]
	v_fma_f64 v[98:99], v[235:236], s[34:35], -v[124:125]
	v_add_f64 v[88:89], v[90:91], v[88:89]
	v_fma_f64 v[90:91], v[214:215], s[56:57], v[100:101]
	v_add_f64 v[92:93], v[94:95], v[92:93]
	v_fma_f64 v[94:95], v[214:215], s[22:23], v[100:101]
	v_mul_f64 v[100:101], v[112:113], s[20:21]
	v_add_f64 v[88:89], v[90:91], v[88:89]
	v_fma_f64 v[90:91], v[239:240], s[38:39], v[102:103]
	v_add_f64 v[92:93], v[94:95], v[92:93]
	v_fma_f64 v[94:95], v[239:240], s[44:45], v[102:103]
	v_mul_f64 v[102:103], v[130:131], s[34:35]
	v_fma_f64 v[72:73], v[118:119], s[30:31], v[100:101]
	v_add_f64 v[88:89], v[90:91], v[88:89]
	v_fma_f64 v[90:91], v[243:244], s[18:19], v[104:105]
	v_add_f64 v[92:93], v[94:95], v[92:93]
	v_fma_f64 v[94:95], v[243:244], s[40:41], v[104:105]
	v_mul_f64 v[104:105], v[146:147], s[4:5]
	v_fma_f64 v[74:75], v[150:151], s[46:47], v[102:103]
	v_add_f64 v[72:73], v[14:15], v[72:73]
	v_add_f64 v[88:89], v[90:91], v[88:89]
	v_fma_f64 v[90:91], v[110:111], s[36:37], v[106:107]
	v_add_f64 v[92:93], v[94:95], v[92:93]
	v_fma_f64 v[94:95], v[110:111], s[36:37], -v[106:107]
	v_mul_f64 v[106:107], v[164:165], s[36:37]
	v_add_f64 v[72:73], v[74:75], v[72:73]
	v_fma_f64 v[74:75], v[168:169], s[22:23], v[104:105]
	v_add_f64 v[90:91], v[12:13], v[90:91]
	v_add_f64 v[94:95], v[12:13], v[94:95]
	;; [unrolled: 1-line block ×3, first 2 shown]
	v_fma_f64 v[74:75], v[186:187], s[52:53], v[106:107]
	v_add_f64 v[90:91], v[114:115], v[90:91]
	v_mul_f64 v[114:115], v[176:177], s[28:29]
	v_add_f64 v[94:95], v[96:97], v[94:95]
	v_add_f64 v[72:73], v[74:75], v[72:73]
	v_fma_f64 v[74:75], v[214:215], s[60:61], v[108:109]
	v_fma_f64 v[249:250], v[144:145], s[16:17], v[114:115]
	v_fma_f64 v[96:97], v[144:145], s[16:17], -v[114:115]
	v_mul_f64 v[114:115], v[208:209], s[8:9]
	v_add_f64 v[72:73], v[74:75], v[72:73]
	v_add_f64 v[90:91], v[249:250], v[90:91]
	v_mul_f64 v[249:250], v[198:199], s[58:59]
	v_add_f64 v[94:95], v[96:97], v[94:95]
	v_fma_f64 v[74:75], v[239:240], s[18:19], v[114:115]
	v_fma_f64 v[251:252], v[162:163], s[20:21], v[249:250]
	v_fma_f64 v[96:97], v[162:163], s[20:21], -v[249:250]
	v_add_f64 v[72:73], v[74:75], v[72:73]
	v_add_f64 v[90:91], v[251:252], v[90:91]
	v_mul_f64 v[251:252], v[231:232], s[22:23]
	v_add_f64 v[94:95], v[96:97], v[94:95]
	v_fma_f64 v[253:254], v[182:183], s[4:5], v[251:252]
	v_fma_f64 v[96:97], v[182:183], s[4:5], -v[251:252]
	v_add_f64 v[90:91], v[253:254], v[90:91]
	v_mul_f64 v[253:254], v[10:11], s[44:45]
	v_add_f64 v[94:95], v[96:97], v[94:95]
	v_fma_f64 v[116:117], v[206:207], s[26:27], v[253:254]
	v_fma_f64 v[96:97], v[206:207], s[26:27], -v[253:254]
	v_add_f64 v[90:91], v[116:117], v[90:91]
	v_mul_f64 v[116:117], v[245:246], s[40:41]
	v_add_f64 v[94:95], v[96:97], v[94:95]
	v_fma_f64 v[96:97], v[224:225], s[8:9], -v[116:117]
	v_fma_f64 v[120:121], v[224:225], s[8:9], v[116:117]
	v_mul_f64 v[116:117], v[229:230], s[26:27]
	v_add_f64 v[96:97], v[96:97], v[94:95]
	v_fma_f64 v[94:95], v[247:248], s[48:49], v[122:123]
	v_add_f64 v[120:121], v[120:121], v[90:91]
	v_fma_f64 v[90:91], v[247:248], s[46:47], v[122:123]
	v_mul_f64 v[122:123], v[154:155], s[46:47]
	v_fma_f64 v[74:75], v[243:244], s[44:45], v[116:117]
	v_add_f64 v[94:95], v[94:95], v[92:93]
	v_add_f64 v[92:93], v[98:99], v[96:97]
	v_fma_f64 v[96:97], v[118:119], s[58:59], v[100:101]
	v_fma_f64 v[98:99], v[150:151], s[48:49], v[102:103]
	v_add_f64 v[90:91], v[90:91], v[88:89]
	v_fma_f64 v[88:89], v[235:236], s[34:35], v[124:125]
	v_fma_f64 v[124:125], v[126:127], s[34:35], v[122:123]
	v_add_f64 v[72:73], v[74:75], v[72:73]
	v_fma_f64 v[100:101], v[126:127], s[34:35], -v[122:123]
	v_fma_f64 v[102:103], v[235:236], s[10:11], -v[138:139]
	v_add_f64 v[96:97], v[14:15], v[96:97]
	v_mul_f64 v[122:123], v[154:155], s[50:51]
	v_add_f64 v[88:89], v[88:89], v[120:121]
	v_mul_f64 v[120:121], v[132:133], s[30:31]
	v_add_f64 v[96:97], v[98:99], v[96:97]
	v_fma_f64 v[98:99], v[168:169], s[56:57], v[104:105]
	v_mul_f64 v[104:105], v[146:147], s[8:9]
	v_fma_f64 v[74:75], v[110:111], s[20:21], -v[120:121]
	v_add_f64 v[96:97], v[98:99], v[96:97]
	v_fma_f64 v[98:99], v[186:187], s[50:51], v[106:107]
	v_mul_f64 v[106:107], v[164:165], s[10:11]
	v_add_f64 v[74:75], v[12:13], v[74:75]
	v_add_f64 v[96:97], v[98:99], v[96:97]
	v_fma_f64 v[98:99], v[214:215], s[28:29], v[108:109]
	v_add_f64 v[74:75], v[100:101], v[74:75]
	v_mul_f64 v[108:109], v[184:185], s[26:27]
	v_add_f64 v[96:97], v[98:99], v[96:97]
	v_fma_f64 v[98:99], v[239:240], s[40:41], v[114:115]
	v_mul_f64 v[114:115], v[208:209], s[16:17]
	v_add_f64 v[96:97], v[98:99], v[96:97]
	v_fma_f64 v[98:99], v[243:244], s[38:39], v[116:117]
	;; [unrolled: 3-line block ×3, first 2 shown]
	v_mul_f64 v[120:121], v[132:133], s[48:49]
	v_add_f64 v[98:99], v[12:13], v[98:99]
	v_add_f64 v[98:99], v[124:125], v[98:99]
	v_mul_f64 v[124:125], v[176:177], s[22:23]
	v_fma_f64 v[249:250], v[144:145], s[4:5], v[124:125]
	v_fma_f64 v[100:101], v[144:145], s[4:5], -v[124:125]
	v_fma_f64 v[124:125], v[126:127], s[36:37], v[122:123]
	v_add_f64 v[98:99], v[249:250], v[98:99]
	v_mul_f64 v[249:250], v[198:199], s[52:53]
	v_add_f64 v[74:75], v[100:101], v[74:75]
	v_fma_f64 v[251:252], v[162:163], s[36:37], v[249:250]
	v_fma_f64 v[100:101], v[162:163], s[36:37], -v[249:250]
	v_add_f64 v[98:99], v[251:252], v[98:99]
	v_mul_f64 v[251:252], v[231:232], s[60:61]
	v_add_f64 v[74:75], v[100:101], v[74:75]
	v_fma_f64 v[253:254], v[182:183], s[16:17], v[251:252]
	v_fma_f64 v[100:101], v[182:183], s[16:17], -v[251:252]
	v_mul_f64 v[251:252], v[237:238], s[20:21]
	v_add_f64 v[98:99], v[253:254], v[98:99]
	v_mul_f64 v[253:254], v[10:11], s[18:19]
	v_add_f64 v[74:75], v[100:101], v[74:75]
	v_fma_f64 v[128:129], v[206:207], s[8:9], v[253:254]
	v_fma_f64 v[100:101], v[206:207], s[8:9], -v[253:254]
	v_mul_f64 v[253:254], v[6:7], s[30:31]
	v_mul_f64 v[6:7], v[6:7], s[40:41]
	v_add_f64 v[98:99], v[128:129], v[98:99]
	v_mul_f64 v[128:129], v[245:246], s[44:45]
	v_add_f64 v[74:75], v[100:101], v[74:75]
	v_fma_f64 v[100:101], v[224:225], s[26:27], -v[128:129]
	v_fma_f64 v[134:135], v[224:225], s[26:27], v[128:129]
	v_add_f64 v[100:101], v[100:101], v[74:75]
	v_fma_f64 v[74:75], v[247:248], s[54:55], v[136:137]
	v_add_f64 v[134:135], v[134:135], v[98:99]
	;; [unrolled: 2-line block ×3, first 2 shown]
	v_add_f64 v[72:73], v[102:103], v[100:101]
	v_mul_f64 v[100:101], v[112:113], s[34:35]
	v_mul_f64 v[102:103], v[130:131], s[36:37]
	v_add_f64 v[98:99], v[98:99], v[96:97]
	v_fma_f64 v[96:97], v[235:236], s[10:11], v[138:139]
	v_fma_f64 v[68:69], v[118:119], s[46:47], v[100:101]
	v_fma_f64 v[70:71], v[150:151], s[52:53], v[102:103]
	v_fma_f64 v[64:65], v[118:119], s[48:49], v[100:101]
	v_fma_f64 v[66:67], v[150:151], s[50:51], v[102:103]
	v_add_f64 v[96:97], v[96:97], v[134:135]
	v_fma_f64 v[100:101], v[126:127], s[36:37], -v[122:123]
	v_fma_f64 v[102:103], v[235:236], s[20:21], -v[253:254]
	v_mul_f64 v[118:119], v[231:232], s[24:25]
	v_add_f64 v[68:69], v[14:15], v[68:69]
	v_add_f64 v[64:65], v[14:15], v[64:65]
	;; [unrolled: 1-line block ×3, first 2 shown]
	v_fma_f64 v[70:71], v[168:169], s[18:19], v[104:105]
	v_add_f64 v[64:65], v[66:67], v[64:65]
	v_fma_f64 v[66:67], v[168:169], s[40:41], v[104:105]
	v_add_f64 v[68:69], v[70:71], v[68:69]
	;; [unrolled: 2-line block ×11, first 2 shown]
	v_fma_f64 v[66:67], v[110:111], s[34:35], -v[120:121]
	v_mul_f64 v[120:121], v[154:155], s[44:45]
	v_mul_f64 v[154:155], v[162:163], s[26:27]
	v_add_f64 v[70:71], v[12:13], v[70:71]
	v_add_f64 v[66:67], v[12:13], v[66:67]
	v_add_f64 v[32:33], v[154:155], -v[148:149]
	v_add_f64 v[70:71], v[124:125], v[70:71]
	v_mul_f64 v[124:125], v[176:177], s[40:41]
	v_add_f64 v[66:67], v[100:101], v[66:67]
	v_fma_f64 v[128:129], v[144:145], s[8:9], v[124:125]
	v_fma_f64 v[100:101], v[144:145], s[8:9], -v[124:125]
	v_fma_f64 v[124:125], v[126:127], s[26:27], v[120:121]
	v_add_f64 v[70:71], v[128:129], v[70:71]
	v_mul_f64 v[128:129], v[198:199], s[24:25]
	v_add_f64 v[66:67], v[100:101], v[66:67]
	v_fma_f64 v[134:135], v[162:163], s[10:11], v[128:129]
	v_fma_f64 v[100:101], v[162:163], s[10:11], -v[128:129]
	v_add_f64 v[70:71], v[134:135], v[70:71]
	v_mul_f64 v[134:135], v[231:232], s[44:45]
	v_add_f64 v[66:67], v[100:101], v[66:67]
	v_fma_f64 v[136:137], v[182:183], s[26:27], v[134:135]
	v_fma_f64 v[100:101], v[182:183], s[26:27], -v[134:135]
	v_mul_f64 v[134:135], v[208:209], s[4:5]
	v_add_f64 v[70:71], v[136:137], v[70:71]
	v_mul_f64 v[136:137], v[10:11], s[60:61]
	v_add_f64 v[66:67], v[100:101], v[66:67]
	;; [unrolled: 2-line block ×3, first 2 shown]
	v_mul_f64 v[210:211], v[237:238], s[36:37]
	v_fma_f64 v[138:139], v[206:207], s[16:17], v[136:137]
	v_fma_f64 v[100:101], v[206:207], s[16:17], -v[136:137]
	v_mul_f64 v[136:137], v[144:145], s[10:11]
	v_add_f64 v[8:9], v[8:9], v[210:211]
	v_add_f64 v[70:71], v[138:139], v[70:71]
	v_mul_f64 v[138:139], v[245:246], s[22:23]
	v_add_f64 v[66:67], v[100:101], v[66:67]
	v_fma_f64 v[100:101], v[224:225], s[4:5], -v[138:139]
	v_fma_f64 v[249:250], v[224:225], s[4:5], v[138:139]
	v_mul_f64 v[138:139], v[146:147], s[10:11]
	v_add_f64 v[100:101], v[100:101], v[66:67]
	v_fma_f64 v[66:67], v[247:248], s[30:31], v[251:252]
	v_add_f64 v[249:250], v[249:250], v[70:71]
	v_fma_f64 v[70:71], v[247:248], s[58:59], v[251:252]
	v_mov_b32_e32 v251, v141
	v_add_f64 v[66:67], v[66:67], v[64:65]
	v_add_f64 v[64:65], v[102:103], v[100:101]
	v_mul_f64 v[100:101], v[130:131], s[26:27]
	v_add_f64 v[70:71], v[70:71], v[68:69]
	v_fma_f64 v[68:69], v[235:236], s[20:21], v[253:254]
	v_fma_f64 v[102:103], v[150:151], s[38:39], v[100:101]
	;; [unrolled: 1-line block ×3, first 2 shown]
	v_add_f64 v[68:69], v[68:69], v[249:250]
	v_mov_b32_e32 v250, v140
	v_mul_f64 v[150:151], v[164:165], s[16:17]
	v_mov_b32_e32 v249, v228
	v_add_f64 v[78:79], v[102:103], v[78:79]
	v_mul_f64 v[102:103], v[146:147], s[34:35]
	v_add_f64 v[76:77], v[100:101], v[76:77]
	v_fma_f64 v[100:101], v[206:207], s[36:37], v[10:11]
	v_fma_f64 v[10:11], v[206:207], s[36:37], -v[10:11]
	v_add_f64 v[34:35], v[142:143], v[150:151]
	v_fma_f64 v[104:105], v[168:169], s[48:49], v[102:103]
	v_fma_f64 v[102:103], v[168:169], s[46:47], v[102:103]
	v_mul_f64 v[168:169], v[184:185], s[36:37]
	v_add_f64 v[78:79], v[104:105], v[78:79]
	v_mul_f64 v[104:105], v[164:165], s[4:5]
	v_add_f64 v[76:77], v[102:103], v[76:77]
	;; [unrolled: 2-line block ×3, first 2 shown]
	v_mul_f64 v[188:189], v[237:238], s[4:5]
	v_fma_f64 v[106:107], v[186:187], s[22:23], v[104:105]
	v_fma_f64 v[104:105], v[186:187], s[56:57], v[104:105]
	v_mul_f64 v[186:187], v[229:230], s[10:11]
	v_add_f64 v[22:23], v[212:213], v[188:189]
	v_add_f64 v[78:79], v[106:107], v[78:79]
	v_mul_f64 v[106:107], v[184:185], s[10:11]
	v_add_f64 v[76:77], v[104:105], v[76:77]
	v_mul_f64 v[104:105], v[237:238], s[8:9]
	v_fma_f64 v[108:109], v[214:215], s[54:55], v[106:107]
	v_fma_f64 v[106:107], v[214:215], s[24:25], v[106:107]
	v_add_f64 v[78:79], v[108:109], v[78:79]
	v_mul_f64 v[108:109], v[208:209], s[36:37]
	v_add_f64 v[76:77], v[106:107], v[76:77]
	v_fma_f64 v[114:115], v[239:240], s[50:51], v[108:109]
	v_fma_f64 v[108:109], v[239:240], s[52:53], v[108:109]
	v_add_f64 v[78:79], v[114:115], v[78:79]
	v_mul_f64 v[114:115], v[229:230], s[20:21]
	v_add_f64 v[76:77], v[108:109], v[76:77]
	v_mul_f64 v[108:109], v[110:111], s[4:5]
	v_fma_f64 v[116:117], v[243:244], s[30:31], v[114:115]
	v_fma_f64 v[114:115], v[243:244], s[58:59], v[114:115]
	v_add_f64 v[78:79], v[116:117], v[78:79]
	v_mul_f64 v[116:117], v[132:133], s[28:29]
	v_add_f64 v[76:77], v[114:115], v[76:77]
	v_mul_f64 v[114:115], v[130:131], s[8:9]
	v_fma_f64 v[122:123], v[110:111], s[16:17], v[116:117]
	v_fma_f64 v[106:107], v[110:111], s[16:17], -v[116:117]
	v_fma_f64 v[116:117], v[126:127], s[26:27], -v[120:121]
	buffer_load_dword v120, off, s[64:67], 0 offset:240 ; 4-byte Folded Reload
	buffer_load_dword v121, off, s[64:67], 0 offset:244 ; 4-byte Folded Reload
	;; [unrolled: 1-line block ×4, first 2 shown]
	v_add_f64 v[122:123], v[12:13], v[122:123]
	v_add_f64 v[106:107], v[12:13], v[106:107]
	;; [unrolled: 1-line block ×3, first 2 shown]
	v_mul_f64 v[124:125], v[176:177], s[46:47]
	v_add_f64 v[106:107], v[116:117], v[106:107]
	v_mul_f64 v[176:177], v[206:207], s[20:21]
	v_fma_f64 v[128:129], v[144:145], s[34:35], v[124:125]
	v_fma_f64 v[116:117], v[144:145], s[34:35], -v[124:125]
	v_mul_f64 v[124:125], v[146:147], s[26:27]
	v_mul_f64 v[146:147], v[146:147], s[20:21]
	v_add_f64 v[122:123], v[128:129], v[122:123]
	v_mul_f64 v[128:129], v[198:199], s[56:57]
	v_add_f64 v[106:107], v[116:117], v[106:107]
	v_add_f64 v[124:125], v[174:175], v[124:125]
	v_mul_f64 v[174:175], v[182:183], s[8:9]
	v_add_f64 v[146:147], v[152:153], v[146:147]
	v_mul_f64 v[152:153], v[206:207], s[34:35]
	v_mul_f64 v[198:199], v[237:238], s[26:27]
	v_fma_f64 v[132:133], v[162:163], s[4:5], v[128:129]
	v_fma_f64 v[116:117], v[162:163], s[4:5], -v[128:129]
	v_mul_f64 v[128:129], v[164:165], s[34:35]
	v_add_f64 v[174:175], v[174:175], -v[2:3]
	v_add_f64 v[122:123], v[132:133], v[122:123]
	v_fma_f64 v[132:133], v[182:183], s[10:11], v[118:119]
	v_add_f64 v[106:107], v[116:117], v[106:107]
	v_fma_f64 v[118:119], v[182:183], s[10:11], -v[118:119]
	v_mul_f64 v[116:117], v[112:113], s[10:11]
	v_add_f64 v[128:129], v[192:193], v[128:129]
	v_mul_f64 v[192:193], v[224:225], s[16:17]
	v_add_f64 v[122:123], v[132:133], v[122:123]
	;; [unrolled: 2-line block ×3, first 2 shown]
	v_mul_f64 v[118:119], v[110:111], s[8:9]
	v_mul_f64 v[110:111], v[110:111], s[10:11]
	v_add_f64 v[20:21], v[192:193], -v[220:221]
	v_add_f64 v[100:101], v[100:101], v[122:123]
	v_add_f64 v[132:133], v[226:227], v[132:133]
	v_fma_f64 v[122:123], v[224:225], s[20:21], v[102:103]
	v_fma_f64 v[102:103], v[224:225], s[20:21], -v[102:103]
	v_add_f64 v[10:11], v[10:11], v[106:107]
	v_mul_f64 v[106:107], v[229:230], s[16:17]
	v_add_f64 v[100:101], v[122:123], v[100:101]
	v_fma_f64 v[122:123], v[247:248], s[18:19], v[104:105]
	v_add_f64 v[102:103], v[102:103], v[10:11]
	v_mul_f64 v[10:11], v[162:163], s[34:35]
	v_fma_f64 v[104:105], v[247:248], s[40:41], v[104:105]
	v_add_f64 v[106:107], v[241:242], v[106:107]
	s_waitcnt vmcnt(2)
	v_add_f64 v[116:117], v[120:121], v[116:117]
	s_waitcnt vmcnt(0)
	v_add_f64 v[110:111], v[110:111], -v[140:141]
	buffer_load_dword v140, off, s[64:67], 0 offset:224 ; 4-byte Folded Reload
	buffer_load_dword v141, off, s[64:67], 0 offset:228 ; 4-byte Folded Reload
	v_mul_f64 v[120:121], v[130:131], s[20:21]
	v_mul_f64 v[130:131], v[130:131], s[16:17]
	v_add_f64 v[0:1], v[10:11], -v[0:1]
	v_mul_f64 v[10:11], v[162:163], s[16:17]
	v_mul_f64 v[162:163], v[182:183], s[34:35]
	v_add_f64 v[116:117], v[14:15], v[116:117]
	v_add_f64 v[110:111], v[12:13], v[110:111]
	;; [unrolled: 1-line block ×4, first 2 shown]
	v_mul_f64 v[158:159], v[164:165], s[26:27]
	v_mul_f64 v[164:165], v[184:185], s[34:35]
	;; [unrolled: 1-line block ×3, first 2 shown]
	v_fma_f64 v[206:207], v[235:236], s[8:9], -v[6:7]
	v_add_f64 v[116:117], v[120:121], v[116:117]
	v_mul_f64 v[120:121], v[112:113], s[4:5]
	v_mul_f64 v[112:113], v[112:113], s[8:9]
	v_add_f64 v[60:61], v[184:185], -v[202:203]
	v_add_f64 v[158:159], v[170:171], v[158:159]
	v_mul_f64 v[170:171], v[224:225], s[10:11]
	v_add_f64 v[116:117], v[124:125], v[116:117]
	v_mul_f64 v[124:125], v[126:127], s[8:9]
	;; [unrolled: 2-line block ×3, first 2 shown]
	v_mul_f64 v[126:127], v[126:127], s[20:21]
	v_add_f64 v[116:117], v[132:133], v[116:117]
	v_mul_f64 v[132:133], v[144:145], s[20:21]
	v_mul_f64 v[144:145], v[144:145], s[26:27]
	v_add_f64 v[144:145], v[144:145], -v[156:157]
	v_mul_f64 v[156:157], v[182:183], s[36:37]
	v_mul_f64 v[182:183], v[208:209], s[34:35]
	v_add_f64 v[78:79], v[200:201], v[182:183]
	s_waitcnt vmcnt(0)
	v_add_f64 v[126:127], v[126:127], -v[140:141]
	buffer_load_dword v140, off, s[64:67], 0 offset:160 ; 4-byte Folded Reload
	buffer_load_dword v141, off, s[64:67], 0 offset:164 ; 4-byte Folded Reload
	v_add_f64 v[110:111], v[126:127], v[110:111]
	v_mul_f64 v[126:127], v[208:209], s[20:21]
	v_mul_f64 v[208:209], v[235:236], s[36:37]
	v_add_f64 v[110:111], v[144:145], v[110:111]
	v_mul_f64 v[144:145], v[229:230], s[36:37]
	v_add_f64 v[4:5], v[208:209], -v[4:5]
	v_add_f64 v[0:1], v[0:1], v[110:111]
	v_mul_f64 v[110:111], v[235:236], s[4:5]
	v_add_f64 v[0:1], v[174:175], v[0:1]
	v_add_f64 v[0:1], v[60:61], v[0:1]
	;; [unrolled: 1-line block ×4, first 2 shown]
	s_waitcnt vmcnt(0)
	v_add_f64 v[112:113], v[140:141], v[112:113]
	buffer_load_dword v140, off, s[64:67], 0 offset:208 ; 4-byte Folded Reload
	buffer_load_dword v141, off, s[64:67], 0 offset:212 ; 4-byte Folded Reload
	;; [unrolled: 1-line block ×8, first 2 shown]
	v_add_f64 v[112:113], v[14:15], v[112:113]
	s_waitcnt vmcnt(6)
	v_add_f64 v[130:131], v[140:141], v[130:131]
	s_waitcnt vmcnt(4)
	;; [unrolled: 2-line block ×3, first 2 shown]
	v_add_f64 v[24:25], v[108:109], -v[24:25]
	s_waitcnt vmcnt(0)
	v_add_f64 v[26:27], v[118:119], -v[26:27]
	v_add_f64 v[112:113], v[130:131], v[112:113]
	v_add_f64 v[14:15], v[14:15], v[60:61]
	;; [unrolled: 1-line block ×4, first 2 shown]
	v_mul_f64 v[130:131], v[224:225], s[36:37]
	v_add_f64 v[112:113], v[146:147], v[112:113]
	v_mul_f64 v[146:147], v[235:236], s[26:27]
	v_add_f64 v[112:113], v[158:159], v[112:113]
	v_fma_f64 v[158:159], v[235:236], s[8:9], v[6:7]
	v_add_f64 v[6:7], v[104:105], v[76:77]
	v_add_f64 v[76:77], v[134:135], v[116:117]
	;; [unrolled: 1-line block ×7, first 2 shown]
	buffer_load_dword v78, off, s[64:67], 0 offset:112 ; 4-byte Folded Reload
	buffer_load_dword v79, off, s[64:67], 0 offset:116 ; 4-byte Folded Reload
	;; [unrolled: 1-line block ×12, first 2 shown]
	s_waitcnt vmcnt(10)
	v_add_f64 v[78:79], v[128:129], -v[78:79]
	s_waitcnt vmcnt(8)
	v_add_f64 v[104:105], v[104:105], v[114:115]
	s_waitcnt vmcnt(6)
	v_add_f64 v[60:61], v[124:125], -v[60:61]
	s_waitcnt vmcnt(4)
	v_add_f64 v[26:27], v[132:133], -v[26:27]
	s_waitcnt vmcnt(2)
	v_add_f64 v[28:29], v[28:29], v[138:139]
	s_waitcnt vmcnt(0)
	v_add_f64 v[30:31], v[136:137], -v[30:31]
	v_add_f64 v[12:13], v[78:79], v[12:13]
	v_add_f64 v[14:15], v[104:105], v[14:15]
	;; [unrolled: 1-line block ×5, first 2 shown]
	buffer_load_dword v28, off, s[64:67], 0 offset:176 ; 4-byte Folded Reload
	buffer_load_dword v29, off, s[64:67], 0 offset:180 ; 4-byte Folded Reload
	v_add_f64 v[24:25], v[30:31], v[24:25]
	v_add_f64 v[30:31], v[162:163], -v[160:161]
	v_add_f64 v[26:27], v[156:157], -v[172:173]
	v_add_f64 v[12:13], v[32:33], v[12:13]
	v_add_f64 v[14:15], v[34:35], v[14:15]
	;; [unrolled: 1-line block ×3, first 2 shown]
	v_add_f64 v[34:35], v[146:147], -v[216:217]
	v_add_f64 v[12:13], v[26:27], v[12:13]
	v_add_f64 v[26:27], v[170:171], -v[204:205]
	s_waitcnt vmcnt(0)
	v_add_f64 v[10:11], v[10:11], -v[28:29]
	v_add_f64 v[28:29], v[166:167], v[164:165]
	v_add_f64 v[10:11], v[10:11], v[24:25]
	;; [unrolled: 1-line block ×3, first 2 shown]
	v_add_f64 v[28:29], v[176:177], -v[178:179]
	v_add_f64 v[24:25], v[152:153], -v[190:191]
	v_add_f64 v[10:11], v[30:31], v[10:11]
	v_add_f64 v[30:31], v[196:197], v[144:145]
	;; [unrolled: 1-line block ×3, first 2 shown]
	v_add_f64 v[32:33], v[130:131], -v[194:195]
	v_add_f64 v[12:13], v[24:25], v[12:13]
	v_add_f64 v[24:25], v[110:111], -v[233:234]
	v_add_f64 v[10:11], v[28:29], v[10:11]
	v_add_f64 v[28:29], v[222:223], v[198:199]
	;; [unrolled: 1-line block ×12, first 2 shown]
	v_mul_lo_u16_e32 v24, 17, v251
	v_lshlrev_b32_e32 v24, 4, v24
	v_add_f64 v[16:17], v[34:35], v[32:33]
	v_add_f64 v[0:1], v[158:159], v[100:101]
	ds_write_b128 v24, v[20:23]
	ds_write_b128 v24, v[16:19] offset:16
	ds_write_b128 v24, v[12:15] offset:32
	;; [unrolled: 1-line block ×13, first 2 shown]
	buffer_load_dword v0, off, s[64:67], 0 offset:32 ; 4-byte Folded Reload
	buffer_load_dword v1, off, s[64:67], 0 offset:36 ; 4-byte Folded Reload
	;; [unrolled: 1-line block ×4, first 2 shown]
	s_waitcnt vmcnt(0)
	ds_write_b128 v24, v[0:3] offset:224
	buffer_load_dword v0, off, s[64:67], 0 offset:16 ; 4-byte Folded Reload
	buffer_load_dword v1, off, s[64:67], 0 offset:20 ; 4-byte Folded Reload
	buffer_load_dword v2, off, s[64:67], 0 offset:24 ; 4-byte Folded Reload
	buffer_load_dword v3, off, s[64:67], 0 offset:28 ; 4-byte Folded Reload
	s_waitcnt vmcnt(0)
	ds_write_b128 v24, v[0:3] offset:240
	buffer_load_dword v0, off, s[64:67], 0  ; 4-byte Folded Reload
	buffer_load_dword v1, off, s[64:67], 0 offset:4 ; 4-byte Folded Reload
	buffer_load_dword v2, off, s[64:67], 0 offset:8 ; 4-byte Folded Reload
	buffer_load_dword v3, off, s[64:67], 0 offset:12 ; 4-byte Folded Reload
	s_waitcnt vmcnt(0)
	ds_write_b128 v24, v[0:3] offset:256
.LBB0_7:
	s_or_b64 exec, exec, s[42:43]
	s_movk_i32 s8, 0xee
	v_add_co_u32_e32 v0, vcc, s8, v251
	s_movk_i32 s8, 0x165
	v_add_co_u32_e32 v1, vcc, s8, v251
	;; [unrolled: 2-line block ×4, first 2 shown]
	s_movk_i32 s8, 0xf1
	v_mul_lo_u16_sdwa v16, v251, s8 dst_sel:DWORD dst_unused:UNUSED_PAD src0_sel:BYTE_0 src1_sel:DWORD
	v_lshrrev_b16_e32 v17, 12, v16
	v_mul_lo_u16_e32 v2, 17, v17
	v_sub_u16_e32 v2, v251, v2
	v_and_b32_e32 v18, 0xff, v2
	v_add_u16_e32 v2, 0x77, v251
	v_mul_lo_u16_sdwa v3, v2, s8 dst_sel:DWORD dst_unused:UNUSED_PAD src0_sel:BYTE_0 src1_sel:DWORD
	v_lshrrev_b16_e32 v19, 12, v3
	v_mul_lo_u16_e32 v7, 17, v19
	v_sub_u16_e32 v7, v2, v7
	v_lshlrev_b32_e32 v6, 4, v18
	v_and_b32_e32 v20, 0xff, v7
	s_mov_b32 s8, 0xf0f1
	s_load_dwordx4 s[4:7], s[6:7], 0x0
	s_waitcnt lgkmcnt(0)
	s_barrier
	v_lshlrev_b32_e32 v7, 4, v20
	global_load_dwordx4 v[35:38], v6, s[2:3]
	global_load_dwordx4 v[31:34], v7, s[2:3]
	v_mul_u32_u24_sdwa v6, v0, s8 dst_sel:DWORD dst_unused:UNUSED_PAD src0_sel:WORD_0 src1_sel:DWORD
	v_lshrrev_b32_e32 v21, 20, v6
	v_mul_lo_u16_e32 v6, 17, v21
	v_sub_u16_e32 v22, v0, v6
	v_mul_u32_u24_sdwa v6, v1, s8 dst_sel:DWORD dst_unused:UNUSED_PAD src0_sel:WORD_0 src1_sel:DWORD
	v_lshrrev_b32_e32 v23, 20, v6
	v_mul_lo_u16_e32 v6, 17, v23
	v_lshlrev_b32_e32 v0, 4, v22
	v_sub_u16_e32 v24, v1, v6
	v_lshlrev_b32_e32 v1, 4, v24
	global_load_dwordx4 v[202:205], v0, s[2:3]
	global_load_dwordx4 v[198:201], v1, s[2:3]
	v_mul_u32_u24_sdwa v0, v4, s8 dst_sel:DWORD dst_unused:UNUSED_PAD src0_sel:WORD_0 src1_sel:DWORD
	v_lshrrev_b32_e32 v25, 20, v0
	v_mul_lo_u16_e32 v0, 17, v25
	v_sub_u16_e32 v26, v4, v0
	v_lshlrev_b32_e32 v0, 4, v26
	global_load_dwordx4 v[206:209], v0, s[2:3]
	v_mul_u32_u24_sdwa v0, v5, s8 dst_sel:DWORD dst_unused:UNUSED_PAD src0_sel:WORD_0 src1_sel:DWORD
	v_lshrrev_b32_e32 v27, 20, v0
	v_mul_lo_u16_e32 v0, 17, v27
	v_sub_u16_e32 v28, v5, v0
	v_lshlrev_b32_e32 v0, 4, v28
	s_movk_i32 s9, 0x2ca
	global_load_dwordx4 v[214:217], v0, s[2:3]
	v_add_co_u32_e32 v0, vcc, s9, v251
	v_mul_u32_u24_sdwa v1, v0, s8 dst_sel:DWORD dst_unused:UNUSED_PAD src0_sel:WORD_0 src1_sel:DWORD
	v_lshrrev_b32_e32 v29, 20, v1
	v_mul_lo_u16_e32 v1, 17, v29
	v_sub_u16_e32 v30, v0, v1
	v_lshlrev_b32_e32 v0, 4, v30
	global_load_dwordx4 v[210:213], v0, s[2:3]
	v_mov_b32_e32 v0, 4
	v_lshlrev_b32_sdwa v218, v0, v251 dst_sel:DWORD dst_unused:UNUSED_PAD src0_sel:DWORD src1_sel:WORD_0
	ds_read_b128 v[4:7], v218 offset:13328
	ds_read_b128 v[8:11], v218
	ds_read_b128 v[40:43], v218 offset:1904
	ds_read_b128 v[44:47], v218 offset:15232
	;; [unrolled: 1-line block ×12, first 2 shown]
	s_waitcnt vmcnt(0) lgkmcnt(0)
	s_barrier
	s_movk_i32 s30, 0x60
	s_mov_b32 s8, 0x37e14327
	s_mov_b32 s16, 0xe976ee23
	;; [unrolled: 1-line block ×18, first 2 shown]
	v_lshlrev_b32_e32 v219, 4, v251
	v_mul_f64 v[0:1], v[6:7], v[37:38]
	v_mul_f64 v[12:13], v[4:5], v[37:38]
	;; [unrolled: 1-line block ×4, first 2 shown]
	v_fma_f64 v[0:1], v[4:5], v[35:36], -v[0:1]
	v_fma_f64 v[6:7], v[6:7], v[35:36], v[12:13]
	v_fma_f64 v[12:13], v[44:45], v[31:32], -v[14:15]
	v_mul_f64 v[90:91], v[50:51], v[204:205]
	v_mul_f64 v[92:93], v[48:49], v[204:205]
	;; [unrolled: 1-line block ×4, first 2 shown]
	v_fma_f64 v[14:15], v[46:47], v[31:32], v[88:89]
	v_add_f64 v[6:7], v[10:11], -v[6:7]
	v_mul_f64 v[98:99], v[66:67], v[208:209]
	v_mul_f64 v[100:101], v[64:65], v[208:209]
	v_fma_f64 v[48:49], v[48:49], v[202:203], -v[90:91]
	v_fma_f64 v[50:51], v[50:51], v[202:203], v[92:93]
	v_fma_f64 v[60:61], v[60:61], v[198:199], -v[94:95]
	v_fma_f64 v[62:63], v[62:63], v[198:199], v[96:97]
	v_add_f64 v[46:47], v[42:43], -v[14:15]
	v_mul_f64 v[4:5], v[82:83], v[216:217]
	v_mul_f64 v[44:45], v[80:81], v[216:217]
	v_fma_f64 v[64:65], v[64:65], v[206:207], -v[98:99]
	v_fma_f64 v[66:67], v[66:67], v[206:207], v[100:101]
	v_add_f64 v[48:49], v[52:53], -v[48:49]
	v_add_f64 v[50:51], v[54:55], -v[50:51]
	;; [unrolled: 1-line block ×4, first 2 shown]
	v_mul_f64 v[88:89], v[86:87], v[212:213]
	v_mul_f64 v[90:91], v[84:85], v[212:213]
	v_fma_f64 v[80:81], v[80:81], v[214:215], -v[4:5]
	v_fma_f64 v[82:83], v[82:83], v[214:215], v[44:45]
	v_add_f64 v[4:5], v[8:9], -v[0:1]
	v_add_f64 v[44:45], v[40:41], -v[12:13]
	;; [unrolled: 1-line block ×4, first 2 shown]
	v_fma_f64 v[0:1], v[84:85], v[210:211], -v[88:89]
	v_fma_f64 v[12:13], v[86:87], v[210:211], v[90:91]
	v_add_f64 v[80:81], v[72:73], -v[80:81]
	v_add_f64 v[82:83], v[74:75], -v[82:83]
	v_fma_f64 v[8:9], v[8:9], 2.0, -v[4:5]
	v_fma_f64 v[10:11], v[10:11], 2.0, -v[6:7]
	;; [unrolled: 1-line block ×4, first 2 shown]
	v_add_f64 v[84:85], v[76:77], -v[0:1]
	v_add_f64 v[86:87], v[78:79], -v[12:13]
	v_fma_f64 v[52:53], v[52:53], 2.0, -v[48:49]
	v_fma_f64 v[54:55], v[54:55], 2.0, -v[50:51]
	;; [unrolled: 1-line block ×6, first 2 shown]
	v_mul_lo_u16_e32 v0, 34, v17
	v_fma_f64 v[72:73], v[72:73], 2.0, -v[80:81]
	v_fma_f64 v[74:75], v[74:75], 2.0, -v[82:83]
	v_and_b32_e32 v0, 0xfe, v0
	v_add_lshl_u32 v224, v0, v18, 4
	v_mul_u32_u24_e32 v0, 34, v19
	v_fma_f64 v[76:77], v[76:77], 2.0, -v[84:85]
	v_fma_f64 v[78:79], v[78:79], 2.0, -v[86:87]
	v_add_lshl_u32 v225, v0, v20, 4
	v_mad_legacy_u16 v0, v21, 34, v22
	v_lshlrev_b32_e32 v226, 4, v0
	v_mad_legacy_u16 v0, v23, 34, v24
	v_lshlrev_b32_e32 v255, 4, v0
	;; [unrolled: 2-line block ×3, first 2 shown]
	ds_write_b128 v224, v[8:11]
	ds_write_b128 v224, v[4:7] offset:272
	ds_write_b128 v225, v[40:43]
	ds_write_b128 v225, v[44:47] offset:272
	ds_write_b128 v226, v[52:55]
	ds_write_b128 v226, v[48:51] offset:272
	ds_write_b128 v255, v[56:59]
	ds_write_b128 v255, v[60:63] offset:272
	ds_write_b128 v0, v[68:71]
	buffer_store_dword v0, off, s[64:67], 0 offset:48 ; 4-byte Folded Spill
	ds_write_b128 v0, v[64:67] offset:272
	v_mad_legacy_u16 v0, v27, 34, v28
	v_lshlrev_b32_e32 v0, 4, v0
	ds_write_b128 v0, v[72:75]
	buffer_store_dword v0, off, s[64:67], 0 offset:64 ; 4-byte Folded Spill
	ds_write_b128 v0, v[80:83] offset:272
	v_mad_legacy_u16 v0, v29, 34, v30
	v_lshlrev_b32_e32 v0, 4, v0
	v_lshrrev_b16_e32 v4, 13, v16
	ds_write_b128 v0, v[76:79]
	buffer_store_dword v0, off, s[64:67], 0 offset:56 ; 4-byte Folded Spill
	ds_write_b128 v0, v[84:87] offset:272
	v_mul_lo_u16_e32 v0, 34, v4
	v_sub_u16_e32 v0, v251, v0
	v_and_b32_e32 v5, 0xff, v0
	v_mov_b32_e32 v0, s2
	v_mov_b32_e32 v1, s3
	v_mad_u64_u32 v[6:7], s[2:3], v5, s30, v[0:1]
	s_waitcnt vmcnt(0) lgkmcnt(0)
	s_barrier
	global_load_dwordx4 v[64:67], v[6:7], off offset:272
	global_load_dwordx4 v[60:63], v[6:7], off offset:288
	;; [unrolled: 1-line block ×5, first 2 shown]
	v_lshrrev_b16_e32 v16, 13, v3
	v_mul_lo_u16_e32 v3, 34, v16
	v_sub_u16_e32 v2, v2, v3
	v_and_b32_e32 v17, 0xff, v2
	v_mad_u64_u32 v[2:3], s[2:3], v17, s30, v[0:1]
	global_load_dwordx4 v[84:87], v[6:7], off offset:352
	global_load_dwordx4 v[227:230], v[2:3], off offset:272
	;; [unrolled: 1-line block ×7, first 2 shown]
	ds_read_b128 v[6:9], v218
	ds_read_b128 v[88:91], v218 offset:1904
	ds_read_b128 v[92:95], v218 offset:3808
	;; [unrolled: 1-line block ×13, first 2 shown]
	s_mov_b32 s2, 0x36b3c0b5
	s_mov_b32 s3, 0x3fac98ee
	v_mad_u64_u32 v[0:1], s[30:31], v251, s30, v[0:1]
	s_movk_i32 s30, 0x2ca0
	s_waitcnt vmcnt(11) lgkmcnt(11)
	v_mul_f64 v[2:3], v[94:95], v[66:67]
	v_mul_f64 v[10:11], v[92:93], v[66:67]
	s_waitcnt vmcnt(9) lgkmcnt(7)
	v_mul_f64 v[140:141], v[110:111], v[20:21]
	v_mul_f64 v[142:143], v[108:109], v[20:21]
	;; [unrolled: 1-line block ×4, first 2 shown]
	s_waitcnt vmcnt(5)
	v_mul_f64 v[144:145], v[98:99], v[229:230]
	v_fma_f64 v[2:3], v[92:93], v[64:65], -v[2:3]
	v_fma_f64 v[10:11], v[94:95], v[64:65], v[10:11]
	v_fma_f64 v[92:93], v[108:109], v[18:19], -v[140:141]
	buffer_store_dword v18, off, s[64:67], 0 offset:72 ; 4-byte Folded Spill
	s_nop 0
	buffer_store_dword v19, off, s[64:67], 0 offset:76 ; 4-byte Folded Spill
	buffer_store_dword v20, off, s[64:67], 0 offset:80 ; 4-byte Folded Spill
	;; [unrolled: 1-line block ×3, first 2 shown]
	v_fma_f64 v[12:13], v[100:101], v[60:61], -v[12:13]
	s_waitcnt lgkmcnt(5)
	v_mul_f64 v[100:101], v[118:119], v[58:59]
	s_waitcnt lgkmcnt(1)
	v_mul_f64 v[140:141], v[134:135], v[86:87]
	v_fma_f64 v[14:15], v[102:103], v[60:61], v[14:15]
	v_mul_f64 v[102:103], v[116:117], v[58:59]
	v_mul_f64 v[108:109], v[126:127], v[70:71]
	;; [unrolled: 1-line block ×3, first 2 shown]
	v_fma_f64 v[100:101], v[116:117], v[56:57], -v[100:101]
	v_fma_f64 v[116:117], v[132:133], v[84:85], -v[140:141]
	s_waitcnt vmcnt(6)
	v_mul_f64 v[140:141], v[122:123], v[24:25]
	v_fma_f64 v[102:103], v[118:119], v[56:57], v[102:103]
	v_fma_f64 v[108:109], v[124:125], v[68:69], -v[108:109]
	v_fma_f64 v[94:95], v[110:111], v[18:19], v[142:143]
	v_mul_f64 v[142:143], v[132:133], v[86:87]
	v_mul_f64 v[110:111], v[124:125], v[70:71]
	v_fma_f64 v[124:125], v[96:97], v[227:228], -v[144:145]
	v_mul_f64 v[96:97], v[106:107], v[82:83]
	v_mul_f64 v[132:133], v[114:115], v[78:79]
	s_waitcnt vmcnt(5)
	v_mul_f64 v[144:145], v[130:131], v[233:234]
	v_fma_f64 v[118:119], v[134:135], v[84:85], v[142:143]
	v_mul_f64 v[142:143], v[120:121], v[24:25]
	v_fma_f64 v[120:121], v[120:121], v[22:23], -v[140:141]
	buffer_store_dword v22, off, s[64:67], 0 offset:88 ; 4-byte Folded Spill
	s_nop 0
	buffer_store_dword v23, off, s[64:67], 0 offset:92 ; 4-byte Folded Spill
	buffer_store_dword v24, off, s[64:67], 0 offset:96 ; 4-byte Folded Spill
	;; [unrolled: 1-line block ×3, first 2 shown]
	v_fma_f64 v[110:111], v[126:127], v[68:69], v[110:111]
	v_fma_f64 v[126:127], v[98:99], v[227:228], v[146:147]
	v_mul_f64 v[98:99], v[104:105], v[82:83]
	v_fma_f64 v[148:149], v[104:105], v[80:81], -v[96:97]
	v_add_f64 v[104:105], v[2:3], v[116:117]
	v_add_f64 v[2:3], v[2:3], -v[116:117]
	v_add_f64 v[116:117], v[12:13], v[108:109]
	v_mul_f64 v[134:135], v[112:113], v[78:79]
	v_mul_f64 v[146:147], v[128:129], v[233:234]
	v_add_f64 v[12:13], v[12:13], -v[108:109]
	v_fma_f64 v[150:151], v[106:107], v[80:81], v[98:99]
	v_add_f64 v[106:107], v[10:11], v[118:119]
	v_add_f64 v[10:11], v[10:11], -v[118:119]
	v_add_f64 v[118:119], v[14:15], v[110:111]
	v_add_f64 v[14:15], v[14:15], -v[110:111]
	v_add_f64 v[108:109], v[92:93], v[100:101]
	v_add_f64 v[110:111], v[94:95], v[102:103]
	v_add_f64 v[92:93], v[100:101], -v[92:93]
	v_add_f64 v[94:95], v[102:103], -v[94:95]
	v_add_f64 v[100:101], v[116:117], v[104:105]
	v_fma_f64 v[112:113], v[112:113], v[76:77], -v[132:133]
	v_add_f64 v[102:103], v[118:119], v[106:107]
	v_fma_f64 v[114:115], v[114:115], v[76:77], v[134:135]
	v_fma_f64 v[128:129], v[128:129], v[231:232], -v[144:145]
	v_fma_f64 v[130:131], v[130:131], v[231:232], v[146:147]
	v_add_f64 v[132:133], v[116:117], -v[104:105]
	v_add_f64 v[134:135], v[118:119], -v[106:107]
	;; [unrolled: 1-line block ×6, first 2 shown]
	v_add_f64 v[140:141], v[92:93], v[12:13]
	v_add_f64 v[144:145], v[92:93], -v[12:13]
	v_add_f64 v[146:147], v[94:95], -v[14:15]
	v_add_f64 v[100:101], v[108:109], v[100:101]
	v_add_f64 v[102:103], v[110:111], v[102:103]
	v_add_f64 v[12:13], v[12:13], -v[2:3]
	v_add_f64 v[92:93], v[2:3], -v[92:93]
	v_mul_f64 v[104:105], v[104:105], s[8:9]
	v_add_f64 v[2:3], v[140:141], v[2:3]
	v_mul_f64 v[106:107], v[106:107], s[8:9]
	v_mul_f64 v[108:109], v[116:117], s[2:3]
	v_add_f64 v[6:7], v[6:7], v[100:101]
	v_add_f64 v[8:9], v[8:9], v[102:103]
	v_mul_f64 v[110:111], v[118:119], s[2:3]
	v_mul_f64 v[140:141], v[144:145], s[16:17]
	;; [unrolled: 1-line block ×3, first 2 shown]
	s_waitcnt vmcnt(8) lgkmcnt(0)
	v_mul_f64 v[96:97], v[138:139], v[222:223]
	v_mul_f64 v[98:99], v[136:137], v[222:223]
	v_fma_f64 v[116:117], v[116:117], s[2:3], v[104:105]
	v_fma_f64 v[100:101], v[100:101], s[18:19], v[6:7]
	;; [unrolled: 1-line block ×4, first 2 shown]
	v_fma_f64 v[108:109], v[132:133], s[20:21], -v[108:109]
	v_fma_f64 v[110:111], v[134:135], s[20:21], -v[110:111]
	v_fma_f64 v[104:105], v[132:133], s[22:23], -v[104:105]
	v_fma_f64 v[106:107], v[134:135], s[22:23], -v[106:107]
	v_fma_f64 v[132:133], v[92:93], s[24:25], v[140:141]
	v_fma_f64 v[12:13], v[12:13], s[10:11], -v[140:141]
	v_fma_f64 v[92:93], v[92:93], s[28:29], -v[144:145]
	v_add_f64 v[116:117], v[116:117], v[100:101]
	v_add_f64 v[108:109], v[108:109], v[100:101]
	;; [unrolled: 1-line block ×5, first 2 shown]
	v_fma_f64 v[132:133], v[2:3], s[26:27], v[132:133]
	s_waitcnt vmcnt(0)
	s_barrier
	v_fma_f64 v[122:123], v[122:123], v[22:23], v[142:143]
	v_add_f64 v[142:143], v[94:95], v[14:15]
	v_add_f64 v[14:15], v[14:15], -v[10:11]
	v_add_f64 v[94:95], v[10:11], -v[94:95]
	v_add_f64 v[10:11], v[142:143], v[10:11]
	v_mul_f64 v[142:143], v[146:147], s[16:17]
	v_mul_f64 v[146:147], v[14:15], s[10:11]
	v_fma_f64 v[134:135], v[94:95], s[24:25], v[142:143]
	v_fma_f64 v[14:15], v[14:15], s[10:11], -v[142:143]
	v_fma_f64 v[94:95], v[94:95], s[28:29], -v[146:147]
	v_fma_f64 v[146:147], v[2:3], s[26:27], v[92:93]
	v_fma_f64 v[2:3], v[2:3], s[26:27], v[12:13]
	v_fma_f64 v[12:13], v[136:137], v[220:221], -v[96:97]
	v_add_f64 v[142:143], v[106:107], v[102:103]
	v_add_f64 v[136:137], v[112:113], v[120:121]
	v_fma_f64 v[134:135], v[10:11], s[26:27], v[134:135]
	v_add_f64 v[112:113], v[120:121], -v[112:113]
	v_fma_f64 v[144:145], v[10:11], s[26:27], v[94:95]
	v_fma_f64 v[10:11], v[10:11], s[26:27], v[14:15]
	;; [unrolled: 1-line block ×3, first 2 shown]
	v_add_f64 v[102:103], v[2:3], v[110:111]
	v_add_f64 v[106:107], v[110:111], -v[2:3]
	v_add_f64 v[2:3], v[124:125], v[12:13]
	v_add_f64 v[12:13], v[124:125], -v[12:13]
	;; [unrolled: 2-line block ×3, first 2 shown]
	v_add_f64 v[100:101], v[108:109], -v[10:11]
	v_add_f64 v[104:105], v[10:11], v[108:109]
	v_add_f64 v[10:11], v[126:127], v[14:15]
	v_add_f64 v[14:15], v[126:127], -v[14:15]
	v_add_f64 v[126:127], v[150:151], v[130:131]
	v_add_f64 v[130:131], v[150:151], -v[130:131]
	;; [unrolled: 2-line block ×3, first 2 shown]
	v_add_f64 v[120:121], v[124:125], v[2:3]
	v_add_f64 v[96:97], v[144:145], v[140:141]
	v_add_f64 v[98:99], v[142:143], -v[146:147]
	v_add_f64 v[108:109], v[140:141], -v[144:145]
	v_add_f64 v[122:123], v[126:127], v[10:11]
	v_add_f64 v[110:111], v[146:147], v[142:143]
	v_add_f64 v[140:141], v[124:125], -v[2:3]
	v_add_f64 v[142:143], v[126:127], -v[10:11]
	;; [unrolled: 1-line block ×6, first 2 shown]
	v_add_f64 v[144:145], v[112:113], v[128:129]
	v_add_f64 v[146:147], v[114:115], v[130:131]
	v_add_f64 v[148:149], v[112:113], -v[128:129]
	v_add_f64 v[150:151], v[114:115], -v[130:131]
	v_add_f64 v[120:121], v[136:137], v[120:121]
	v_add_f64 v[122:123], v[138:139], v[122:123]
	v_add_f64 v[128:129], v[128:129], -v[12:13]
	v_add_f64 v[130:131], v[130:131], -v[14:15]
	;; [unrolled: 1-line block ×4, first 2 shown]
	v_add_f64 v[12:13], v[144:145], v[12:13]
	v_add_f64 v[14:15], v[146:147], v[14:15]
	;; [unrolled: 1-line block ×4, first 2 shown]
	v_mul_f64 v[2:3], v[2:3], s[8:9]
	v_mul_f64 v[10:11], v[10:11], s[8:9]
	;; [unrolled: 1-line block ×8, first 2 shown]
	v_fma_f64 v[120:121], v[120:121], s[18:19], v[88:89]
	v_fma_f64 v[122:123], v[122:123], s[18:19], v[90:91]
	;; [unrolled: 1-line block ×4, first 2 shown]
	v_fma_f64 v[136:137], v[140:141], s[20:21], -v[136:137]
	v_fma_f64 v[138:139], v[142:143], s[20:21], -v[138:139]
	;; [unrolled: 1-line block ×4, first 2 shown]
	v_fma_f64 v[140:141], v[112:113], s[24:25], v[144:145]
	v_fma_f64 v[142:143], v[114:115], s[24:25], v[146:147]
	v_fma_f64 v[112:113], v[112:113], s[28:29], -v[148:149]
	v_fma_f64 v[114:115], v[114:115], s[28:29], -v[150:151]
	;; [unrolled: 1-line block ×4, first 2 shown]
	v_add_f64 v[144:145], v[124:125], v[120:121]
	v_add_f64 v[146:147], v[126:127], v[122:123]
	v_fma_f64 v[140:141], v[12:13], s[26:27], v[140:141]
	v_fma_f64 v[142:143], v[14:15], s[26:27], v[142:143]
	v_add_f64 v[2:3], v[2:3], v[120:121]
	v_add_f64 v[10:11], v[10:11], v[122:123]
	v_fma_f64 v[148:149], v[14:15], s[26:27], v[114:115]
	v_fma_f64 v[150:151], v[12:13], s[26:27], v[112:113]
	;; [unrolled: 4-line block ×3, first 2 shown]
	v_add_f64 v[92:93], v[134:135], v[116:117]
	v_add_f64 v[94:95], v[118:119], -v[132:133]
	v_add_f64 v[112:113], v[116:117], -v[134:135]
	v_add_f64 v[114:115], v[132:133], v[118:119]
	v_add_f64 v[116:117], v[142:143], v[144:145]
	v_add_f64 v[118:119], v[146:147], -v[140:141]
	v_add_f64 v[120:121], v[148:149], v[2:3]
	v_add_f64 v[122:123], v[10:11], -v[150:151]
	v_add_f64 v[124:125], v[136:137], -v[14:15]
	v_add_f64 v[126:127], v[12:13], v[138:139]
	v_add_f64 v[128:129], v[14:15], v[136:137]
	v_add_f64 v[130:131], v[138:139], -v[12:13]
	v_add_f64 v[132:133], v[2:3], -v[148:149]
	v_add_f64 v[134:135], v[150:151], v[10:11]
	v_mul_u32_u24_e32 v2, 0xee, v4
	v_add_f64 v[136:137], v[144:145], -v[142:143]
	v_add_f64 v[138:139], v[140:141], v[146:147]
	v_add_lshl_u32 v235, v2, v5, 4
	v_mul_u32_u24_e32 v2, 0xee, v16
	v_add_lshl_u32 v236, v2, v17, 4
	ds_write_b128 v235, v[6:9]
	ds_write_b128 v235, v[92:95] offset:544
	ds_write_b128 v235, v[96:99] offset:1088
	;; [unrolled: 1-line block ×6, first 2 shown]
	ds_write_b128 v236, v[88:91]
	ds_write_b128 v236, v[116:119] offset:544
	ds_write_b128 v236, v[120:123] offset:1088
	;; [unrolled: 1-line block ×6, first 2 shown]
	s_waitcnt lgkmcnt(0)
	s_barrier
	global_load_dwordx4 v[104:107], v[0:1], off offset:3536
	global_load_dwordx4 v[100:103], v[0:1], off offset:3552
	;; [unrolled: 1-line block ×6, first 2 shown]
	v_add_co_u32_e32 v0, vcc, s30, v0
	v_addc_co_u32_e32 v1, vcc, 0, v1, vcc
	global_load_dwordx4 v[128:131], v[0:1], off offset:3536
	global_load_dwordx4 v[124:127], v[0:1], off offset:3552
	global_load_dwordx4 v[120:123], v[0:1], off offset:3568
	global_load_dwordx4 v[116:119], v[0:1], off offset:3584
	global_load_dwordx4 v[132:135], v[0:1], off offset:3600
	global_load_dwordx4 v[92:95], v[0:1], off offset:3616
	ds_read_b128 v[0:3], v218
	ds_read_b128 v[4:7], v218 offset:1904
	ds_read_b128 v[8:11], v218 offset:3808
	;; [unrolled: 1-line block ×13, first 2 shown]
	s_waitcnt vmcnt(11) lgkmcnt(11)
	v_mul_f64 v[12:13], v[10:11], v[106:107]
	v_mul_f64 v[14:15], v[8:9], v[106:107]
	s_waitcnt vmcnt(10) lgkmcnt(9)
	v_mul_f64 v[180:181], v[142:143], v[102:103]
	v_mul_f64 v[182:183], v[140:141], v[102:103]
	;; [unrolled: 3-line block ×3, first 2 shown]
	s_waitcnt vmcnt(5)
	v_mul_f64 v[188:189], v[138:139], v[130:131]
	v_mul_f64 v[190:191], v[136:137], v[130:131]
	v_fma_f64 v[8:9], v[8:9], v[104:105], -v[12:13]
	v_fma_f64 v[10:11], v[10:11], v[104:105], v[14:15]
	v_fma_f64 v[12:13], v[140:141], v[100:101], -v[180:181]
	v_fma_f64 v[14:15], v[142:143], v[100:101], v[182:183]
	;; [unrolled: 2-line block ×3, first 2 shown]
	s_waitcnt lgkmcnt(5)
	v_mul_f64 v[148:149], v[158:159], v[90:91]
	v_mul_f64 v[150:151], v[156:157], v[90:91]
	s_waitcnt lgkmcnt(3)
	v_mul_f64 v[180:181], v[166:167], v[114:115]
	v_mul_f64 v[182:183], v[164:165], v[114:115]
	;; [unrolled: 3-line block ×3, first 2 shown]
	v_fma_f64 v[148:149], v[156:157], v[88:89], -v[148:149]
	v_fma_f64 v[150:151], v[158:159], v[88:89], v[150:151]
	v_fma_f64 v[156:157], v[164:165], v[112:113], -v[180:181]
	v_fma_f64 v[158:159], v[166:167], v[112:113], v[182:183]
	;; [unrolled: 2-line block ×4, first 2 shown]
	s_waitcnt vmcnt(4)
	v_mul_f64 v[136:137], v[146:147], v[126:127]
	v_mul_f64 v[138:139], v[144:145], v[126:127]
	s_waitcnt vmcnt(3)
	v_mul_f64 v[180:181], v[154:155], v[122:123]
	v_mul_f64 v[182:183], v[152:153], v[122:123]
	;; [unrolled: 3-line block ×4, first 2 shown]
	v_fma_f64 v[192:193], v[144:145], v[124:125], -v[136:137]
	v_fma_f64 v[194:195], v[146:147], v[124:125], v[138:139]
	v_fma_f64 v[180:181], v[152:153], v[120:121], -v[180:181]
	v_fma_f64 v[182:183], v[154:155], v[120:121], v[182:183]
	v_add_f64 v[136:137], v[8:9], v[164:165]
	v_add_f64 v[138:139], v[10:11], v[166:167]
	;; [unrolled: 1-line block ×4, first 2 shown]
	v_add_f64 v[8:9], v[8:9], -v[164:165]
	v_add_f64 v[10:11], v[10:11], -v[166:167]
	;; [unrolled: 1-line block ×4, first 2 shown]
	v_add_f64 v[156:157], v[140:141], v[148:149]
	v_add_f64 v[158:159], v[142:143], v[150:151]
	v_add_f64 v[140:141], v[148:149], -v[140:141]
	v_add_f64 v[142:143], v[150:151], -v[142:143]
	v_add_f64 v[148:149], v[152:153], v[136:137]
	v_add_f64 v[150:151], v[154:155], v[138:139]
	v_fma_f64 v[160:161], v[160:161], v[116:117], -v[184:185]
	v_fma_f64 v[162:163], v[162:163], v[116:117], v[186:187]
	v_fma_f64 v[168:169], v[168:169], v[132:133], -v[188:189]
	v_fma_f64 v[170:171], v[170:171], v[132:133], v[190:191]
	v_add_f64 v[164:165], v[152:153], -v[136:137]
	v_add_f64 v[166:167], v[154:155], -v[138:139]
	;; [unrolled: 1-line block ×6, first 2 shown]
	v_add_f64 v[136:137], v[140:141], v[12:13]
	v_add_f64 v[138:139], v[142:143], v[14:15]
	v_add_f64 v[188:189], v[140:141], -v[12:13]
	v_add_f64 v[190:191], v[142:143], -v[14:15]
	v_add_f64 v[148:149], v[156:157], v[148:149]
	v_add_f64 v[150:151], v[158:159], v[150:151]
	v_add_f64 v[12:13], v[12:13], -v[8:9]
	v_add_f64 v[14:15], v[14:15], -v[10:11]
	;; [unrolled: 1-line block ×4, first 2 shown]
	v_add_f64 v[8:9], v[136:137], v[8:9]
	v_add_f64 v[10:11], v[138:139], v[10:11]
	;; [unrolled: 1-line block ×4, first 2 shown]
	v_mul_f64 v[0:1], v[184:185], s[8:9]
	v_mul_f64 v[2:3], v[186:187], s[8:9]
	;; [unrolled: 1-line block ×8, first 2 shown]
	s_waitcnt vmcnt(0) lgkmcnt(0)
	v_mul_f64 v[144:145], v[178:179], v[94:95]
	v_mul_f64 v[146:147], v[176:177], v[94:95]
	v_fma_f64 v[148:149], v[148:149], s[18:19], v[136:137]
	v_fma_f64 v[150:151], v[150:151], s[18:19], v[138:139]
	v_fma_f64 v[152:153], v[152:153], s[2:3], v[0:1]
	v_fma_f64 v[154:155], v[154:155], s[2:3], v[2:3]
	v_fma_f64 v[156:157], v[164:165], s[20:21], -v[156:157]
	v_fma_f64 v[158:159], v[166:167], s[20:21], -v[158:159]
	;; [unrolled: 1-line block ×4, first 2 shown]
	v_fma_f64 v[164:165], v[140:141], s[24:25], v[184:185]
	v_fma_f64 v[166:167], v[142:143], s[24:25], v[186:187]
	v_fma_f64 v[12:13], v[12:13], s[10:11], -v[184:185]
	v_fma_f64 v[14:15], v[14:15], s[10:11], -v[186:187]
	;; [unrolled: 1-line block ×4, first 2 shown]
	v_add_f64 v[184:185], v[152:153], v[148:149]
	v_add_f64 v[186:187], v[154:155], v[150:151]
	;; [unrolled: 1-line block ×6, first 2 shown]
	v_fma_f64 v[166:167], v[10:11], s[26:27], v[166:167]
	v_fma_f64 v[188:189], v[8:9], s[26:27], v[164:165]
	v_fma_f64 v[156:157], v[10:11], s[26:27], v[142:143]
	v_fma_f64 v[158:159], v[8:9], s[26:27], v[140:141]
	v_fma_f64 v[10:11], v[10:11], s[26:27], v[14:15]
	v_fma_f64 v[8:9], v[8:9], s[26:27], v[12:13]
	v_fma_f64 v[12:13], v[176:177], v[92:93], -v[144:145]
	v_fma_f64 v[14:15], v[178:179], v[92:93], v[146:147]
	v_add_f64 v[164:165], v[192:193], -v[168:169]
	v_add_f64 v[140:141], v[166:167], v[184:185]
	v_add_f64 v[144:145], v[156:157], v[0:1]
	v_add_f64 v[146:147], v[2:3], -v[158:159]
	v_add_f64 v[148:149], v[152:153], -v[10:11]
	v_add_f64 v[150:151], v[8:9], v[154:155]
	v_add_f64 v[152:153], v[10:11], v[152:153]
	v_add_f64 v[154:155], v[154:155], -v[8:9]
	v_add_f64 v[156:157], v[0:1], -v[156:157]
	v_add_f64 v[158:159], v[158:159], v[2:3]
	v_add_f64 v[0:1], v[172:173], v[12:13]
	;; [unrolled: 1-line block ×3, first 2 shown]
	v_add_f64 v[8:9], v[172:173], -v[12:13]
	v_add_f64 v[10:11], v[174:175], -v[14:15]
	v_add_f64 v[12:13], v[192:193], v[168:169]
	v_add_f64 v[14:15], v[194:195], v[170:171]
	v_add_f64 v[168:169], v[194:195], -v[170:171]
	v_add_f64 v[170:171], v[180:181], v[160:161]
	v_add_f64 v[172:173], v[182:183], v[162:163]
	v_add_f64 v[160:161], v[160:161], -v[180:181]
	v_add_f64 v[162:163], v[162:163], -v[182:183]
	;; [unrolled: 1-line block ×3, first 2 shown]
	v_add_f64 v[174:175], v[12:13], v[0:1]
	v_add_f64 v[176:177], v[14:15], v[2:3]
	v_add_f64 v[178:179], v[12:13], -v[0:1]
	v_add_f64 v[180:181], v[14:15], -v[2:3]
	;; [unrolled: 1-line block ×6, first 2 shown]
	v_add_f64 v[182:183], v[160:161], v[164:165]
	v_add_f64 v[190:191], v[162:163], v[168:169]
	v_add_f64 v[192:193], v[160:161], -v[164:165]
	v_add_f64 v[194:195], v[162:163], -v[168:169]
	v_add_f64 v[170:171], v[170:171], v[174:175]
	v_add_f64 v[172:173], v[172:173], v[176:177]
	v_add_f64 v[164:165], v[164:165], -v[8:9]
	v_add_f64 v[168:169], v[168:169], -v[10:11]
	;; [unrolled: 1-line block ×4, first 2 shown]
	v_add_f64 v[8:9], v[182:183], v[8:9]
	v_add_f64 v[10:11], v[190:191], v[10:11]
	;; [unrolled: 1-line block ×4, first 2 shown]
	v_mul_f64 v[0:1], v[0:1], s[8:9]
	v_mul_f64 v[2:3], v[2:3], s[8:9]
	;; [unrolled: 1-line block ×8, first 2 shown]
	v_fma_f64 v[170:171], v[170:171], s[18:19], v[160:161]
	v_fma_f64 v[172:173], v[172:173], s[18:19], v[162:163]
	;; [unrolled: 1-line block ×4, first 2 shown]
	v_fma_f64 v[4:5], v[178:179], s[20:21], -v[4:5]
	v_fma_f64 v[6:7], v[180:181], s[20:21], -v[6:7]
	;; [unrolled: 1-line block ×4, first 2 shown]
	v_fma_f64 v[178:179], v[174:175], s[24:25], v[182:183]
	v_fma_f64 v[180:181], v[176:177], s[24:25], v[190:191]
	v_fma_f64 v[164:165], v[164:165], s[10:11], -v[182:183]
	v_fma_f64 v[168:169], v[168:169], s[10:11], -v[190:191]
	;; [unrolled: 1-line block ×4, first 2 shown]
	v_add_f64 v[12:13], v[12:13], v[170:171]
	v_add_f64 v[14:15], v[14:15], v[172:173]
	;; [unrolled: 1-line block ×6, first 2 shown]
	v_fma_f64 v[190:191], v[10:11], s[26:27], v[180:181]
	v_fma_f64 v[192:193], v[8:9], s[26:27], v[178:179]
	;; [unrolled: 1-line block ×6, first 2 shown]
	v_add_f64 v[164:165], v[184:185], -v[166:167]
	v_add_f64 v[166:167], v[188:189], v[186:187]
	v_add_f64 v[168:169], v[190:191], v[12:13]
	v_add_f64 v[170:171], v[14:15], -v[192:193]
	v_add_f64 v[172:173], v[194:195], v[0:1]
	v_add_f64 v[174:175], v[2:3], -v[196:197]
	v_add_f64 v[176:177], v[4:5], -v[10:11]
	v_add_f64 v[178:179], v[8:9], v[6:7]
	v_add_f64 v[180:181], v[10:11], v[4:5]
	v_add_f64 v[182:183], v[6:7], -v[8:9]
	v_add_f64 v[184:185], v[0:1], -v[194:195]
	v_add_f64 v[186:187], v[196:197], v[2:3]
	v_add_f64 v[188:189], v[12:13], -v[190:191]
	v_add_f64 v[190:191], v[192:193], v[14:15]
	ds_write_b128 v218, v[136:139]
	ds_write_b128 v218, v[140:143] offset:3808
	ds_write_b128 v218, v[144:147] offset:7616
	;; [unrolled: 1-line block ×13, first 2 shown]
	s_waitcnt lgkmcnt(0)
	s_barrier
	s_and_saveexec_b64 s[2:3], s[0:1]
	s_cbranch_execz .LBB0_9
; %bb.8:
	v_add_co_u32_e32 v0, vcc, s12, v249
	v_mov_b32_e32 v1, s13
	v_addc_co_u32_e32 v1, vcc, 0, v1, vcc
	v_add_co_u32_e32 v10, vcc, 0x6820, v0
	v_addc_co_u32_e32 v11, vcc, 0, v1, vcc
	v_add_co_u32_e32 v6, vcc, 0x6000, v0
	v_addc_co_u32_e32 v7, vcc, 0, v1, vcc
	global_load_dwordx4 v[6:9], v[6:7], off offset:2080
	ds_read_b128 v[2:5], v218
	s_movk_i32 s8, 0x7000
	s_waitcnt vmcnt(0) lgkmcnt(0)
	v_mul_f64 v[12:13], v[4:5], v[8:9]
	v_fma_f64 v[192:193], v[2:3], v[6:7], -v[12:13]
	v_mul_f64 v[2:3], v[2:3], v[8:9]
	v_fma_f64 v[194:195], v[4:5], v[6:7], v[2:3]
	global_load_dwordx4 v[6:9], v[10:11], off offset:1568
	ds_write_b128 v218, v[192:195]
	ds_read_b128 v[2:5], v219 offset:1568
	s_waitcnt vmcnt(0) lgkmcnt(0)
	v_mul_f64 v[12:13], v[4:5], v[8:9]
	v_fma_f64 v[192:193], v[2:3], v[6:7], -v[12:13]
	v_mul_f64 v[2:3], v[2:3], v[8:9]
	v_fma_f64 v[194:195], v[4:5], v[6:7], v[2:3]
	global_load_dwordx4 v[6:9], v[10:11], off offset:3136
	ds_read_b128 v[2:5], v219 offset:3136
	ds_write_b128 v219, v[192:195] offset:1568
	s_waitcnt vmcnt(0) lgkmcnt(1)
	v_mul_f64 v[10:11], v[4:5], v[8:9]
	v_fma_f64 v[192:193], v[2:3], v[6:7], -v[10:11]
	v_mul_f64 v[2:3], v[2:3], v[8:9]
	v_fma_f64 v[194:195], v[4:5], v[6:7], v[2:3]
	v_add_co_u32_e32 v6, vcc, s8, v0
	v_addc_co_u32_e32 v7, vcc, 0, v1, vcc
	global_load_dwordx4 v[6:9], v[6:7], off offset:2688
	ds_read_b128 v[2:5], v219 offset:4704
	s_mov_b32 s8, 0x8000
	ds_write_b128 v219, v[192:195] offset:3136
	s_waitcnt vmcnt(0) lgkmcnt(1)
	v_mul_f64 v[10:11], v[4:5], v[8:9]
	v_fma_f64 v[192:193], v[2:3], v[6:7], -v[10:11]
	v_mul_f64 v[2:3], v[2:3], v[8:9]
	v_add_co_u32_e32 v10, vcc, s8, v0
	v_addc_co_u32_e32 v11, vcc, 0, v1, vcc
	s_mov_b32 s8, 0x9000
	v_fma_f64 v[194:195], v[4:5], v[6:7], v[2:3]
	global_load_dwordx4 v[6:9], v[10:11], off offset:160
	ds_read_b128 v[2:5], v219 offset:6272
	ds_write_b128 v219, v[192:195] offset:4704
	s_waitcnt vmcnt(0) lgkmcnt(1)
	v_mul_f64 v[12:13], v[4:5], v[8:9]
	v_fma_f64 v[192:193], v[2:3], v[6:7], -v[12:13]
	v_mul_f64 v[2:3], v[2:3], v[8:9]
	v_fma_f64 v[194:195], v[4:5], v[6:7], v[2:3]
	global_load_dwordx4 v[6:9], v[10:11], off offset:1728
	ds_read_b128 v[2:5], v219 offset:7840
	ds_write_b128 v219, v[192:195] offset:6272
	s_waitcnt vmcnt(0) lgkmcnt(1)
	v_mul_f64 v[12:13], v[4:5], v[8:9]
	v_fma_f64 v[192:193], v[2:3], v[6:7], -v[12:13]
	v_mul_f64 v[2:3], v[2:3], v[8:9]
	;; [unrolled: 8-line block ×3, first 2 shown]
	v_add_co_u32_e32 v10, vcc, s8, v0
	v_addc_co_u32_e32 v11, vcc, 0, v1, vcc
	s_mov_b32 s8, 0xa000
	v_fma_f64 v[194:195], v[4:5], v[6:7], v[2:3]
	global_load_dwordx4 v[6:9], v[10:11], off offset:768
	ds_read_b128 v[2:5], v219 offset:10976
	ds_write_b128 v219, v[192:195] offset:9408
	s_waitcnt vmcnt(0) lgkmcnt(1)
	v_mul_f64 v[12:13], v[4:5], v[8:9]
	v_fma_f64 v[192:193], v[2:3], v[6:7], -v[12:13]
	v_mul_f64 v[2:3], v[2:3], v[8:9]
	v_fma_f64 v[194:195], v[4:5], v[6:7], v[2:3]
	global_load_dwordx4 v[6:9], v[10:11], off offset:2336
	ds_read_b128 v[2:5], v219 offset:12544
	ds_write_b128 v219, v[192:195] offset:10976
	s_waitcnt vmcnt(0) lgkmcnt(1)
	v_mul_f64 v[12:13], v[4:5], v[8:9]
	v_fma_f64 v[192:193], v[2:3], v[6:7], -v[12:13]
	v_mul_f64 v[2:3], v[2:3], v[8:9]
	;; [unrolled: 8-line block ×3, first 2 shown]
	v_add_co_u32_e32 v10, vcc, s8, v0
	v_addc_co_u32_e32 v11, vcc, 0, v1, vcc
	s_mov_b32 s8, 0xb000
	v_fma_f64 v[194:195], v[4:5], v[6:7], v[2:3]
	global_load_dwordx4 v[6:9], v[10:11], off offset:1376
	ds_read_b128 v[2:5], v219 offset:15680
	ds_write_b128 v219, v[192:195] offset:14112
	s_waitcnt vmcnt(0) lgkmcnt(1)
	v_mul_f64 v[12:13], v[4:5], v[8:9]
	v_fma_f64 v[192:193], v[2:3], v[6:7], -v[12:13]
	v_mul_f64 v[2:3], v[2:3], v[8:9]
	v_fma_f64 v[194:195], v[4:5], v[6:7], v[2:3]
	global_load_dwordx4 v[6:9], v[10:11], off offset:2944
	ds_read_b128 v[2:5], v219 offset:17248
	ds_write_b128 v219, v[192:195] offset:15680
	s_waitcnt vmcnt(0) lgkmcnt(1)
	v_mul_f64 v[10:11], v[4:5], v[8:9]
	v_fma_f64 v[192:193], v[2:3], v[6:7], -v[10:11]
	v_mul_f64 v[2:3], v[2:3], v[8:9]
	v_add_co_u32_e32 v10, vcc, s8, v0
	v_addc_co_u32_e32 v11, vcc, 0, v1, vcc
	s_mov_b32 s8, 0xc000
	v_fma_f64 v[194:195], v[4:5], v[6:7], v[2:3]
	global_load_dwordx4 v[6:9], v[10:11], off offset:416
	ds_read_b128 v[2:5], v219 offset:18816
	ds_write_b128 v219, v[192:195] offset:17248
	s_waitcnt vmcnt(0) lgkmcnt(1)
	v_mul_f64 v[12:13], v[4:5], v[8:9]
	v_fma_f64 v[192:193], v[2:3], v[6:7], -v[12:13]
	v_mul_f64 v[2:3], v[2:3], v[8:9]
	v_fma_f64 v[194:195], v[4:5], v[6:7], v[2:3]
	global_load_dwordx4 v[6:9], v[10:11], off offset:1984
	ds_read_b128 v[2:5], v219 offset:20384
	ds_write_b128 v219, v[192:195] offset:18816
	s_waitcnt vmcnt(0) lgkmcnt(1)
	v_mul_f64 v[12:13], v[4:5], v[8:9]
	v_fma_f64 v[192:193], v[2:3], v[6:7], -v[12:13]
	v_mul_f64 v[2:3], v[2:3], v[8:9]
	;; [unrolled: 8-line block ×3, first 2 shown]
	v_add_co_u32_e32 v10, vcc, s8, v0
	v_addc_co_u32_e32 v11, vcc, 0, v1, vcc
	v_fma_f64 v[194:195], v[4:5], v[6:7], v[2:3]
	global_load_dwordx4 v[6:9], v[10:11], off offset:1024
	ds_read_b128 v[2:5], v219 offset:23520
	ds_write_b128 v219, v[192:195] offset:21952
	s_waitcnt vmcnt(0) lgkmcnt(1)
	v_mul_f64 v[0:1], v[4:5], v[8:9]
	v_fma_f64 v[0:1], v[2:3], v[6:7], -v[0:1]
	v_mul_f64 v[2:3], v[2:3], v[8:9]
	v_fma_f64 v[2:3], v[4:5], v[6:7], v[2:3]
	global_load_dwordx4 v[4:7], v[10:11], off offset:2592
	ds_write_b128 v219, v[0:3] offset:23520
	ds_read_b128 v[0:3], v219 offset:25088
	s_waitcnt vmcnt(0) lgkmcnt(0)
	v_mul_f64 v[8:9], v[2:3], v[6:7]
	v_fma_f64 v[8:9], v[0:1], v[4:5], -v[8:9]
	v_mul_f64 v[0:1], v[0:1], v[6:7]
	v_fma_f64 v[10:11], v[2:3], v[4:5], v[0:1]
	ds_write_b128 v219, v[8:11] offset:25088
.LBB0_9:
	s_or_b64 exec, exec, s[2:3]
	s_waitcnt lgkmcnt(0)
	s_barrier
	s_and_saveexec_b64 s[2:3], s[0:1]
	s_cbranch_execz .LBB0_11
; %bb.10:
	ds_read_b128 v[136:139], v218
	ds_read_b128 v[140:143], v218 offset:1568
	ds_read_b128 v[144:147], v218 offset:3136
	ds_read_b128 v[148:151], v218 offset:4704
	ds_read_b128 v[152:155], v218 offset:6272
	ds_read_b128 v[156:159], v218 offset:7840
	ds_read_b128 v[164:167], v218 offset:9408
	ds_read_b128 v[160:163], v218 offset:10976
	ds_read_b128 v[168:171], v218 offset:12544
	ds_read_b128 v[172:175], v218 offset:14112
	ds_read_b128 v[176:179], v218 offset:15680
	ds_read_b128 v[180:183], v218 offset:17248
	ds_read_b128 v[184:187], v218 offset:18816
	ds_read_b128 v[188:191], v218 offset:20384
	ds_read_b128 v[0:3], v218 offset:21952
	s_waitcnt lgkmcnt(0)
	buffer_store_dword v0, off, s[64:67], 0 offset:32 ; 4-byte Folded Spill
	s_nop 0
	buffer_store_dword v1, off, s[64:67], 0 offset:36 ; 4-byte Folded Spill
	buffer_store_dword v2, off, s[64:67], 0 offset:40 ; 4-byte Folded Spill
	;; [unrolled: 1-line block ×3, first 2 shown]
	ds_read_b128 v[0:3], v218 offset:23520
	s_waitcnt lgkmcnt(0)
	buffer_store_dword v0, off, s[64:67], 0 offset:16 ; 4-byte Folded Spill
	s_nop 0
	buffer_store_dword v1, off, s[64:67], 0 offset:20 ; 4-byte Folded Spill
	buffer_store_dword v2, off, s[64:67], 0 offset:24 ; 4-byte Folded Spill
	;; [unrolled: 1-line block ×3, first 2 shown]
	ds_read_b128 v[0:3], v218 offset:25088
	s_waitcnt lgkmcnt(0)
	buffer_store_dword v0, off, s[64:67], 0 ; 4-byte Folded Spill
	s_nop 0
	buffer_store_dword v1, off, s[64:67], 0 offset:4 ; 4-byte Folded Spill
	buffer_store_dword v2, off, s[64:67], 0 offset:8 ; 4-byte Folded Spill
	;; [unrolled: 1-line block ×3, first 2 shown]
.LBB0_11:
	s_or_b64 exec, exec, s[2:3]
	s_waitcnt vmcnt(0)
	s_barrier
	s_and_saveexec_b64 s[2:3], s[0:1]
	s_cbranch_execz .LBB0_13
; %bb.12:
	buffer_store_dword v227, off, s[64:67], 0 offset:324 ; 4-byte Folded Spill
	s_nop 0
	buffer_store_dword v228, off, s[64:67], 0 offset:328 ; 4-byte Folded Spill
	buffer_store_dword v229, off, s[64:67], 0 offset:332 ; 4-byte Folded Spill
	;; [unrolled: 1-line block ×4, first 2 shown]
	s_nop 0
	buffer_store_dword v61, off, s[64:67], 0 offset:280 ; 4-byte Folded Spill
	buffer_store_dword v62, off, s[64:67], 0 offset:284 ; 4-byte Folded Spill
	;; [unrolled: 1-line block ×3, first 2 shown]
	buffer_load_dword v60, off, s[64:67], 0 ; 4-byte Folded Reload
	s_nop 0
	buffer_load_dword v61, off, s[64:67], 0 offset:4 ; 4-byte Folded Reload
	buffer_load_dword v62, off, s[64:67], 0 offset:8 ; 4-byte Folded Reload
	;; [unrolled: 1-line block ×3, first 2 shown]
	s_nop 0
	buffer_store_dword v64, off, s[64:67], 0 offset:292 ; 4-byte Folded Spill
	s_nop 0
	buffer_store_dword v65, off, s[64:67], 0 offset:296 ; 4-byte Folded Spill
	buffer_store_dword v66, off, s[64:67], 0 offset:300 ; 4-byte Folded Spill
	;; [unrolled: 1-line block ×3, first 2 shown]
	buffer_load_dword v64, off, s[64:67], 0 offset:16 ; 4-byte Folded Reload
	s_nop 0
	buffer_load_dword v65, off, s[64:67], 0 offset:20 ; 4-byte Folded Reload
	buffer_load_dword v66, off, s[64:67], 0 offset:24 ; 4-byte Folded Reload
	;; [unrolled: 1-line block ×3, first 2 shown]
	s_nop 0
	buffer_store_dword v68, off, s[64:67], 0 offset:308 ; 4-byte Folded Spill
	s_nop 0
	buffer_store_dword v69, off, s[64:67], 0 offset:312 ; 4-byte Folded Spill
	buffer_store_dword v70, off, s[64:67], 0 offset:316 ; 4-byte Folded Spill
	;; [unrolled: 1-line block ×3, first 2 shown]
	buffer_load_dword v68, off, s[64:67], 0 offset:32 ; 4-byte Folded Reload
	s_nop 0
	buffer_load_dword v69, off, s[64:67], 0 offset:36 ; 4-byte Folded Reload
	buffer_load_dword v70, off, s[64:67], 0 offset:40 ; 4-byte Folded Reload
	;; [unrolled: 1-line block ×3, first 2 shown]
	s_nop 0
	buffer_store_dword v202, off, s[64:67], 0 offset:160 ; 4-byte Folded Spill
	s_nop 0
	buffer_store_dword v203, off, s[64:67], 0 offset:164 ; 4-byte Folded Spill
	buffer_store_dword v204, off, s[64:67], 0 offset:168 ; 4-byte Folded Spill
	;; [unrolled: 1-line block ×9, first 2 shown]
	s_nop 0
	buffer_store_dword v232, off, s[64:67], 0 offset:344 ; 4-byte Folded Spill
	buffer_store_dword v233, off, s[64:67], 0 offset:348 ; 4-byte Folded Spill
	;; [unrolled: 1-line block ×4, first 2 shown]
	s_nop 0
	buffer_store_dword v207, off, s[64:67], 0 offset:180 ; 4-byte Folded Spill
	buffer_store_dword v208, off, s[64:67], 0 offset:184 ; 4-byte Folded Spill
	;; [unrolled: 1-line block ×5, first 2 shown]
	s_nop 0
	buffer_store_dword v57, off, s[64:67], 0 offset:264 ; 4-byte Folded Spill
	buffer_store_dword v58, off, s[64:67], 0 offset:268 ; 4-byte Folded Spill
	;; [unrolled: 1-line block ×4, first 2 shown]
	s_nop 0
	buffer_store_dword v251, off, s[64:67], 0 offset:368 ; 4-byte Folded Spill
	s_mov_b32 s18, 0xacd6c6b4
	s_mov_b32 s19, 0xbfc7851a
	;; [unrolled: 1-line block ×10, first 2 shown]
	v_add_f64 v[48:49], v[152:153], -v[188:189]
	s_mov_b32 s48, 0x2a9d6da3
	s_mov_b32 s10, 0x910ea3b9
	;; [unrolled: 1-line block ×4, first 2 shown]
	v_add_f64 v[18:19], v[156:157], -v[184:185]
	v_add_f64 v[241:242], v[154:155], v[190:191]
	s_mov_b32 s26, 0x6c9a05f6
	v_mul_f64 v[204:205], v[48:49], s[48:49]
	s_mov_b32 s22, 0x75d4884
	s_mov_b32 s27, 0xbfe9895b
	;; [unrolled: 1-line block ×3, first 2 shown]
	v_add_f64 v[253:254], v[164:165], -v[180:181]
	v_add_f64 v[239:240], v[158:159], v[186:187]
	s_mov_b32 s44, 0x7c9e640b
	s_mov_b32 s16, 0x6ed5f1bb
	v_fma_f64 v[194:195], v[241:242], s[22:23], v[204:205]
	v_mov_b32_e32 v45, v19
	s_mov_b32 s45, 0x3feca52d
	s_mov_b32 s17, 0xbfe348c8
	v_mov_b32_e32 v44, v18
	v_mul_f64 v[224:225], v[253:254], s[44:45]
	v_add_f64 v[237:238], v[166:167], v[182:183]
	s_mov_b32 s36, 0x2b2883cd
	s_mov_b32 s37, 0x3fdc86fa
	buffer_store_dword v214, off, s[64:67], 0 offset:208 ; 4-byte Folded Spill
	s_nop 0
	buffer_store_dword v215, off, s[64:67], 0 offset:212 ; 4-byte Folded Spill
	buffer_store_dword v216, off, s[64:67], 0 offset:216 ; 4-byte Folded Spill
	buffer_store_dword v217, off, s[64:67], 0 offset:220 ; 4-byte Folded Spill
	buffer_store_dword v210, off, s[64:67], 0 offset:192 ; 4-byte Folded Spill
	s_nop 0
	buffer_store_dword v211, off, s[64:67], 0 offset:196 ; 4-byte Folded Spill
	buffer_store_dword v212, off, s[64:67], 0 offset:200 ; 4-byte Folded Spill
	buffer_store_dword v213, off, s[64:67], 0 offset:204 ; 4-byte Folded Spill
	;; [unrolled: 5-line block ×3, first 2 shown]
	v_add_f64 v[20:21], v[154:155], -v[190:191]
	v_add_f64 v[39:40], v[166:167], -v[182:183]
	v_fma_f64 v[22:23], v[241:242], s[22:23], -v[204:205]
	v_add_f64 v[72:73], v[160:161], -v[176:177]
	s_mov_b32 s28, 0x923c349f
	s_mov_b32 s29, 0xbfeec746
	v_add_f64 v[0:1], v[168:169], -v[172:173]
	v_add_f64 v[235:236], v[162:163], v[178:179]
	v_mov_b32_e32 v199, v21
	v_mov_b32_e32 v198, v20
	s_mov_b32 s52, 0xeb564b22
	v_mul_f64 v[226:227], v[72:73], s[28:29]
	s_mov_b32 s30, 0xc61f0d01
	s_mov_b32 s53, 0x3fefdd0d
	;; [unrolled: 1-line block ×3, first 2 shown]
	v_add_f64 v[26:27], v[170:171], -v[174:175]
	v_add_f64 v[229:230], v[170:171], v[174:175]
	v_mul_f64 v[4:5], v[0:1], s[52:53]
	s_mov_b32 s34, 0x3259b75e
	s_mov_b32 s35, 0x3fb79ee6
	v_fma_f64 v[233:234], v[235:236], s[30:31], v[226:227]
	s_mov_b32 s43, 0xbfefdd0d
	s_mov_b32 s42, s52
	v_mov_b32_e32 v203, v27
	v_mov_b32_e32 v202, v26
	;; [unrolled: 1-line block ×3, first 2 shown]
	s_mov_b32 s57, 0x3fe9895b
	s_mov_b32 s56, s26
	v_mov_b32_e32 v206, v39
	s_mov_b32 s39, 0xbfd71e95
	s_waitcnt vmcnt(54)
	v_add_f64 v[10:11], v[140:141], -v[60:61]
	s_waitcnt vmcnt(52)
	v_add_f64 v[247:248], v[142:143], v[62:63]
	s_waitcnt vmcnt(46)
	v_add_f64 v[2:3], v[144:145], -v[64:65]
	s_waitcnt vmcnt(44)
	v_add_f64 v[243:244], v[146:147], v[66:67]
	;; [unrolled: 4-line block ×3, first 2 shown]
	v_add_f64 v[16:17], v[146:147], -v[66:67]
	v_add_f64 v[200:201], v[148:149], v[68:69]
	v_mul_f64 v[6:7], v[10:11], s[18:19]
	s_mov_b32 s38, s40
	v_mov_b32_e32 v53, v3
	v_mul_f64 v[8:9], v[2:3], s[40:41]
	v_mov_b32_e32 v52, v2
	v_mul_f64 v[12:13], v[196:197], s[24:25]
	v_mul_f64 v[210:211], v[16:17], s[40:41]
	buffer_store_dword v251, off, s[64:67], 0 offset:372 ; 4-byte Folded Spill
	v_fma_f64 v[2:3], v[247:248], s[8:9], v[6:7]
	v_fma_f64 v[6:7], v[247:248], s[8:9], -v[6:7]
	buffer_store_dword v220, off, s[64:67], 0 offset:224 ; 4-byte Folded Spill
	s_nop 0
	buffer_store_dword v221, off, s[64:67], 0 offset:228 ; 4-byte Folded Spill
	buffer_store_dword v222, off, s[64:67], 0 offset:232 ; 4-byte Folded Spill
	;; [unrolled: 1-line block ×3, first 2 shown]
	v_fma_f64 v[14:15], v[243:244], s[20:21], v[8:9]
	v_fma_f64 v[222:223], v[243:244], s[20:21], -v[8:9]
	v_fma_f64 v[192:193], v[245:246], s[10:11], v[12:13]
	v_mov_b32_e32 v57, v17
	v_mov_b32_e32 v56, v16
	v_add_f64 v[2:3], v[138:139], v[2:3]
	v_add_f64 v[6:7], v[138:139], v[6:7]
	v_add_f64 v[8:9], v[158:159], -v[186:187]
	v_mul_f64 v[16:17], v[20:21], s[48:49]
	v_fma_f64 v[12:13], v[245:246], s[10:11], -v[12:13]
	v_mul_f64 v[28:29], v[56:57], s[44:45]
	s_mov_b32 s55, 0x3feec746
	s_mov_b32 s54, s28
	v_add_f64 v[2:3], v[14:15], v[2:3]
	v_mul_f64 v[14:15], v[18:19], s[26:27]
	v_add_f64 v[18:19], v[142:143], -v[62:63]
	v_add_f64 v[6:7], v[222:223], v[6:7]
	v_mov_b32_e32 v47, v9
	v_mov_b32_e32 v46, v8
	;; [unrolled: 1-line block ×4, first 2 shown]
	v_add_f64 v[2:3], v[192:193], v[2:3]
	v_fma_f64 v[192:193], v[239:240], s[16:17], v[14:15]
	v_mul_f64 v[208:209], v[18:19], s[18:19]
	v_mov_b32_e32 v232, v19
	v_mov_b32_e32 v231, v18
	v_add_f64 v[18:19], v[150:151], -v[70:71]
	v_add_f64 v[6:7], v[12:13], v[6:7]
	v_fma_f64 v[14:15], v[239:240], s[16:17], -v[14:15]
	v_add_f64 v[2:3], v[194:195], v[2:3]
	v_fma_f64 v[194:195], v[237:238], s[36:37], v[224:225]
	v_mov_b32_e32 v51, v45
	v_mov_b32_e32 v50, v44
	;; [unrolled: 1-line block ×3, first 2 shown]
	v_mul_f64 v[214:215], v[18:19], s[24:25]
	v_mov_b32_e32 v59, v19
	v_mov_b32_e32 v58, v18
	v_add_f64 v[2:3], v[192:193], v[2:3]
	v_add_f64 v[192:193], v[140:141], v[60:61]
	;; [unrolled: 1-line block ×3, first 2 shown]
	v_mov_b32_e32 v216, v46
	s_mov_b32 s47, 0xbfe58eea
	v_fma_f64 v[18:19], v[200:201], s[10:11], -v[214:215]
	v_fma_f64 v[12:13], v[200:201], s[10:11], v[214:215]
	v_add_f64 v[214:215], v[164:165], v[180:181]
	v_add_f64 v[249:250], v[194:195], v[2:3]
	;; [unrolled: 1-line block ×3, first 2 shown]
	v_fma_f64 v[212:213], v[192:193], s[8:9], -v[208:209]
	v_fma_f64 v[208:209], v[192:193], s[8:9], v[208:209]
	v_add_f64 v[194:195], v[162:163], -v[178:179]
	v_add_f64 v[6:7], v[14:15], v[6:7]
	s_mov_b32 s46, s48
	s_mov_b32 s59, 0x3fe0d888
	;; [unrolled: 1-line block ×3, first 2 shown]
	v_fma_f64 v[251:252], v[2:3], s[20:21], -v[210:211]
	v_add_f64 v[220:221], v[136:137], v[212:213]
	v_add_f64 v[212:213], v[152:153], v[188:189]
	v_fma_f64 v[222:223], v[2:3], s[20:21], v[210:211]
	v_add_f64 v[208:209], v[136:137], v[208:209]
	v_add_f64 v[210:211], v[156:157], v[184:185]
	s_mov_b32 s51, 0xbfeca52d
	s_mov_b32 s50, s44
	v_add_f64 v[220:221], v[251:252], v[220:221]
	v_mul_f64 v[251:252], v[8:9], s[26:27]
	v_fma_f64 v[20:21], v[212:213], s[22:23], -v[16:17]
	v_add_f64 v[204:205], v[222:223], v[208:209]
	v_fma_f64 v[16:17], v[212:213], s[22:23], v[16:17]
	v_add_f64 v[208:209], v[160:161], v[176:177]
	v_add_f64 v[18:19], v[18:19], v[220:221]
	v_mul_f64 v[220:221], v[39:40], s[44:45]
	v_fma_f64 v[222:223], v[210:211], s[16:17], -v[251:252]
	v_add_f64 v[12:13], v[12:13], v[204:205]
	v_fma_f64 v[14:15], v[210:211], s[16:17], v[251:252]
	v_add_f64 v[204:205], v[168:169], v[172:173]
	v_mul_f64 v[251:252], v[196:197], s[42:43]
	v_mov_b32_e32 v41, v1
	v_add_f64 v[18:19], v[20:21], v[18:19]
	v_fma_f64 v[22:23], v[214:215], s[36:37], -v[220:221]
	v_mul_f64 v[20:21], v[194:195], s[28:29]
	v_add_f64 v[12:13], v[16:17], v[12:13]
	v_mul_f64 v[16:17], v[26:27], s[52:53]
	v_fma_f64 v[220:221], v[214:215], s[36:37], v[220:221]
	v_mov_b32_e32 v40, v0
	v_mul_f64 v[0:1], v[58:59], s[38:39]
	v_add_f64 v[18:19], v[222:223], v[18:19]
	v_fma_f64 v[222:223], v[237:238], s[36:37], -v[224:225]
	v_fma_f64 v[224:225], v[208:209], s[30:31], -v[20:21]
	v_add_f64 v[12:13], v[14:15], v[12:13]
	v_fma_f64 v[14:15], v[229:230], s[34:35], v[4:5]
	v_fma_f64 v[4:5], v[229:230], s[34:35], -v[4:5]
	v_fma_f64 v[20:21], v[208:209], s[30:31], v[20:21]
	v_add_f64 v[18:19], v[22:23], v[18:19]
	v_fma_f64 v[22:23], v[235:236], s[30:31], -v[226:227]
	v_add_f64 v[6:7], v[222:223], v[6:7]
	v_add_f64 v[222:223], v[233:234], v[249:250]
	v_fma_f64 v[226:227], v[204:205], s[34:35], -v[16:17]
	v_mul_f64 v[249:250], v[231:232], s[24:25]
	v_mul_f64 v[233:234], v[48:49], s[56:57]
	v_add_f64 v[12:13], v[220:221], v[12:13]
	v_add_f64 v[18:19], v[224:225], v[18:19]
	v_mul_f64 v[224:225], v[52:53], s[44:45]
	v_add_f64 v[6:7], v[22:23], v[6:7]
	v_add_f64 v[26:27], v[14:15], v[222:223]
	v_mul_f64 v[222:223], v[44:45], s[38:39]
	v_mul_f64 v[220:221], v[253:254], s[18:19]
	;; [unrolled: 1-line block ×4, first 2 shown]
	v_add_f64 v[24:25], v[226:227], v[18:19]
	buffer_store_dword v24, off, s[64:67], 0 offset:376 ; 4-byte Folded Spill
	s_nop 0
	buffer_store_dword v25, off, s[64:67], 0 offset:380 ; 4-byte Folded Spill
	buffer_store_dword v26, off, s[64:67], 0 offset:384 ; 4-byte Folded Spill
	;; [unrolled: 1-line block ×3, first 2 shown]
	v_add_f64 v[8:9], v[4:5], v[6:7]
	v_fma_f64 v[4:5], v[204:205], s[34:35], v[16:17]
	v_mul_f64 v[16:17], v[10:11], s[24:25]
	buffer_store_dword v31, off, s[64:67], 0 offset:112 ; 4-byte Folded Spill
	s_nop 0
	buffer_store_dword v32, off, s[64:67], 0 offset:116 ; 4-byte Folded Spill
	buffer_store_dword v33, off, s[64:67], 0 offset:120 ; 4-byte Folded Spill
	buffer_store_dword v34, off, s[64:67], 0 offset:124 ; 4-byte Folded Spill
	v_fma_f64 v[24:25], v[243:244], s[36:37], v[224:225]
	v_fma_f64 v[30:31], v[192:193], s[10:11], -v[249:250]
	v_fma_f64 v[249:250], v[192:193], s[10:11], v[249:250]
	buffer_store_dword v35, off, s[64:67], 0 offset:128 ; 4-byte Folded Spill
	s_nop 0
	buffer_store_dword v36, off, s[64:67], 0 offset:132 ; 4-byte Folded Spill
	buffer_store_dword v37, off, s[64:67], 0 offset:136 ; 4-byte Folded Spill
	;; [unrolled: 1-line block ×3, first 2 shown]
	v_fma_f64 v[34:35], v[245:246], s[34:35], v[251:252]
	v_fma_f64 v[36:37], v[2:3], s[36:37], -v[28:29]
	v_fma_f64 v[226:227], v[247:248], s[10:11], v[16:17]
	v_fma_f64 v[16:17], v[247:248], s[10:11], -v[16:17]
	v_fma_f64 v[38:39], v[243:244], s[36:37], -v[224:225]
	v_add_f64 v[30:31], v[136:137], v[30:31]
	v_fma_f64 v[28:29], v[2:3], s[36:37], v[28:29]
	v_add_f64 v[224:225], v[136:137], v[249:250]
	v_fma_f64 v[32:33], v[241:242], s[16:17], v[233:234]
	v_add_f64 v[6:7], v[20:21], v[12:13]
	v_add_f64 v[26:27], v[138:139], v[226:227]
	;; [unrolled: 1-line block ×3, first 2 shown]
	v_fma_f64 v[226:227], v[239:240], s[20:21], v[222:223]
	v_add_f64 v[30:31], v[36:37], v[30:31]
	v_fma_f64 v[36:37], v[245:246], s[34:35], -v[251:252]
	v_add_f64 v[28:29], v[28:29], v[224:225]
	v_fma_f64 v[20:21], v[237:238], s[8:9], v[220:221]
	v_fma_f64 v[18:19], v[235:236], s[22:23], v[14:15]
	v_add_f64 v[24:25], v[24:25], v[26:27]
	v_mul_f64 v[26:27], v[58:59], s[42:43]
	v_add_f64 v[16:17], v[38:39], v[16:17]
	v_fma_f64 v[224:225], v[241:242], s[16:17], -v[233:234]
	v_add_f64 v[6:7], v[4:5], v[6:7]
	v_fma_f64 v[12:13], v[229:230], s[30:31], v[22:23]
	buffer_store_dword v6, off, s[64:67], 0 offset:392 ; 4-byte Folded Spill
	s_nop 0
	buffer_store_dword v7, off, s[64:67], 0 offset:396 ; 4-byte Folded Spill
	buffer_store_dword v8, off, s[64:67], 0 offset:400 ; 4-byte Folded Spill
	;; [unrolled: 1-line block ×3, first 2 shown]
	v_add_f64 v[24:25], v[34:35], v[24:25]
	v_mul_f64 v[34:35], v[198:199], s[56:57]
	v_fma_f64 v[249:250], v[200:201], s[34:35], -v[26:27]
	v_fma_f64 v[26:27], v[200:201], s[34:35], v[26:27]
	v_add_f64 v[16:17], v[36:37], v[16:17]
	v_fma_f64 v[14:15], v[235:236], s[22:23], -v[14:15]
	v_add_f64 v[24:25], v[32:33], v[24:25]
	v_mul_f64 v[32:33], v[46:47], s[38:39]
	v_fma_f64 v[38:39], v[212:213], s[16:17], -v[34:35]
	v_add_f64 v[30:31], v[249:250], v[30:31]
	v_fma_f64 v[34:35], v[212:213], s[16:17], v[34:35]
	v_add_f64 v[26:27], v[26:27], v[28:29]
	v_mul_f64 v[28:29], v[206:207], s[18:19]
	v_add_f64 v[16:17], v[224:225], v[16:17]
	v_add_f64 v[24:25], v[226:227], v[24:25]
	v_fma_f64 v[36:37], v[210:211], s[20:21], -v[32:33]
	v_fma_f64 v[32:33], v[210:211], s[20:21], v[32:33]
	v_add_f64 v[30:31], v[38:39], v[30:31]
	v_fma_f64 v[38:39], v[239:240], s[20:21], -v[222:223]
	v_add_f64 v[26:27], v[34:35], v[26:27]
	v_fma_f64 v[34:35], v[214:215], s[8:9], -v[28:29]
	v_fma_f64 v[28:29], v[214:215], s[8:9], v[28:29]
	v_add_f64 v[20:21], v[20:21], v[24:25]
	v_mul_f64 v[24:25], v[194:195], s[48:49]
	v_mul_f64 v[224:225], v[56:57], s[54:55]
	v_add_f64 v[30:31], v[36:37], v[30:31]
	v_fma_f64 v[36:37], v[237:238], s[8:9], -v[220:221]
	v_add_f64 v[26:27], v[32:33], v[26:27]
	v_add_f64 v[16:17], v[38:39], v[16:17]
	v_mul_f64 v[220:221], v[196:197], s[38:39]
	v_add_f64 v[18:19], v[18:19], v[20:21]
	v_fma_f64 v[32:33], v[208:209], s[22:23], -v[24:25]
	v_fma_f64 v[24:25], v[208:209], s[22:23], v[24:25]
	v_add_f64 v[30:31], v[34:35], v[30:31]
	v_mul_f64 v[20:21], v[202:203], s[28:29]
	v_add_f64 v[26:27], v[28:29], v[26:27]
	v_add_f64 v[16:17], v[36:37], v[16:17]
	v_mul_f64 v[28:29], v[44:45], s[52:53]
	v_add_f64 v[8:9], v[12:13], v[18:19]
	v_mul_f64 v[249:250], v[48:49], s[24:25]
	v_fma_f64 v[251:252], v[245:246], s[20:21], v[220:221]
	v_add_f64 v[6:7], v[32:33], v[30:31]
	v_mul_f64 v[30:31], v[231:232], s[26:27]
	v_add_f64 v[18:19], v[24:25], v[26:27]
	v_mul_f64 v[24:25], v[10:11], s[26:27]
	v_mul_f64 v[32:33], v[52:53], s[54:55]
	v_fma_f64 v[4:5], v[204:205], s[30:31], -v[20:21]
	v_add_f64 v[14:15], v[14:15], v[16:17]
	v_fma_f64 v[16:17], v[204:205], s[30:31], v[20:21]
	v_mul_f64 v[20:21], v[40:41], s[44:45]
	v_fma_f64 v[226:227], v[192:193], s[16:17], -v[30:31]
	v_fma_f64 v[40:41], v[2:3], s[30:31], -v[224:225]
	v_fma_f64 v[36:37], v[247:248], s[16:17], v[24:25]
	v_fma_f64 v[233:234], v[243:244], s[30:31], v[32:33]
	v_fma_f64 v[24:25], v[247:248], s[16:17], -v[24:25]
	v_fma_f64 v[32:33], v[243:244], s[30:31], -v[32:33]
	v_fma_f64 v[30:31], v[192:193], s[16:17], v[30:31]
	v_fma_f64 v[44:45], v[200:201], s[20:21], -v[0:1]
	v_add_f64 v[42:43], v[136:137], v[226:227]
	v_fma_f64 v[226:227], v[241:242], s[10:11], v[249:250]
	v_add_f64 v[36:37], v[138:139], v[36:37]
	v_fma_f64 v[46:47], v[2:3], s[30:31], v[224:225]
	v_add_f64 v[24:25], v[138:139], v[24:25]
	v_mul_f64 v[26:27], v[253:254], s[46:47]
	v_add_f64 v[30:31], v[136:137], v[30:31]
	v_fma_f64 v[222:223], v[239:240], s[34:35], v[28:29]
	v_add_f64 v[40:41], v[40:41], v[42:43]
	v_fma_f64 v[42:43], v[245:246], s[20:21], -v[220:221]
	v_add_f64 v[36:37], v[233:234], v[36:37]
	v_mul_f64 v[233:234], v[198:199], s[24:25]
	v_add_f64 v[24:25], v[32:33], v[24:25]
	v_fma_f64 v[0:1], v[200:201], s[20:21], v[0:1]
	v_add_f64 v[30:31], v[46:47], v[30:31]
	v_fma_f64 v[12:13], v[229:230], s[30:31], -v[22:23]
	v_add_f64 v[40:41], v[44:45], v[40:41]
	v_fma_f64 v[44:45], v[241:242], s[10:11], -v[249:250]
	v_add_f64 v[32:33], v[251:252], v[36:37]
	v_mul_f64 v[36:37], v[216:217], s[52:53]
	v_fma_f64 v[220:221], v[212:213], s[10:11], -v[233:234]
	v_add_f64 v[24:25], v[42:43], v[24:25]
	v_mul_f64 v[42:43], v[206:207], s[46:47]
	v_mul_f64 v[22:23], v[72:73], s[18:19]
	v_fma_f64 v[38:39], v[237:238], s[22:23], v[26:27]
	v_fma_f64 v[28:29], v[239:240], s[34:35], -v[28:29]
	v_add_f64 v[32:33], v[226:227], v[32:33]
	v_fma_f64 v[46:47], v[210:211], s[34:35], -v[36:37]
	v_add_f64 v[40:41], v[220:221], v[40:41]
	v_add_f64 v[24:25], v[44:45], v[24:25]
	v_mul_f64 v[44:45], v[194:195], s[18:19]
	v_fma_f64 v[220:221], v[212:213], s[10:11], v[233:234]
	v_add_f64 v[0:1], v[0:1], v[30:31]
	v_fma_f64 v[30:31], v[214:215], s[22:23], -v[42:43]
	v_add_f64 v[32:33], v[222:223], v[32:33]
	v_add_f64 v[6:7], v[4:5], v[6:7]
	;; [unrolled: 1-line block ×3, first 2 shown]
	v_fma_f64 v[34:35], v[235:236], s[8:9], v[22:23]
	v_fma_f64 v[26:27], v[237:238], s[22:23], -v[26:27]
	v_add_f64 v[24:25], v[28:29], v[24:25]
	v_fma_f64 v[36:37], v[210:211], s[34:35], v[36:37]
	v_add_f64 v[0:1], v[220:221], v[0:1]
	v_add_f64 v[28:29], v[38:39], v[32:33]
	v_mul_f64 v[32:33], v[202:203], s[44:45]
	v_fma_f64 v[38:39], v[208:209], s[8:9], -v[44:45]
	v_add_f64 v[30:31], v[30:31], v[40:41]
	buffer_store_dword v6, off, s[64:67], 0 offset:408 ; 4-byte Folded Spill
	s_nop 0
	buffer_store_dword v7, off, s[64:67], 0 offset:412 ; 4-byte Folded Spill
	buffer_store_dword v8, off, s[64:67], 0 offset:416 ; 4-byte Folded Spill
	;; [unrolled: 1-line block ×3, first 2 shown]
	v_add_f64 v[8:9], v[12:13], v[14:15]
	v_add_f64 v[6:7], v[16:17], v[18:19]
	v_add_f64 v[24:25], v[26:27], v[24:25]
	v_fma_f64 v[26:27], v[229:230], s[36:37], v[20:21]
	v_add_f64 v[28:29], v[34:35], v[28:29]
	v_add_f64 v[0:1], v[36:37], v[0:1]
	v_fma_f64 v[36:37], v[204:205], s[36:37], -v[32:33]
	v_add_f64 v[30:31], v[38:39], v[30:31]
	v_fma_f64 v[22:23], v[235:236], s[8:9], -v[22:23]
	buffer_store_dword v6, off, s[64:67], 0 offset:440 ; 4-byte Folded Spill
	s_nop 0
	buffer_store_dword v7, off, s[64:67], 0 offset:444 ; 4-byte Folded Spill
	buffer_store_dword v8, off, s[64:67], 0 offset:448 ; 4-byte Folded Spill
	buffer_store_dword v9, off, s[64:67], 0 offset:452 ; 4-byte Folded Spill
	v_fma_f64 v[20:21], v[229:230], s[36:37], -v[20:21]
	v_mul_f64 v[14:15], v[10:11], s[28:29]
	v_add_f64 v[8:9], v[26:27], v[28:29]
	v_mul_f64 v[18:19], v[52:53], s[58:59]
	v_fma_f64 v[34:35], v[214:215], s[22:23], v[42:43]
	v_add_f64 v[6:7], v[36:37], v[30:31]
	v_add_f64 v[22:23], v[22:23], v[24:25]
	buffer_store_dword v6, off, s[64:67], 0 offset:424 ; 4-byte Folded Spill
	s_nop 0
	buffer_store_dword v7, off, s[64:67], 0 offset:428 ; 4-byte Folded Spill
	buffer_store_dword v8, off, s[64:67], 0 offset:432 ; 4-byte Folded Spill
	;; [unrolled: 1-line block ×3, first 2 shown]
	v_mov_b32_e32 v8, v231
	v_mov_b32_e32 v9, v232
	v_add_f64 v[224:225], v[20:21], v[22:23]
	v_mul_f64 v[16:17], v[8:9], s[28:29]
	v_fma_f64 v[22:23], v[247:248], s[30:31], v[14:15]
	v_fma_f64 v[14:15], v[247:248], s[30:31], -v[14:15]
	v_mov_b32_e32 v232, v197
	v_mov_b32_e32 v231, v196
	v_mul_f64 v[24:25], v[56:57], s[58:59]
	v_mul_f64 v[28:29], v[231:232], s[48:49]
	v_fma_f64 v[30:31], v[243:244], s[10:11], v[18:19]
	v_fma_f64 v[26:27], v[192:193], s[30:31], -v[16:17]
	v_add_f64 v[22:23], v[138:139], v[22:23]
	v_fma_f64 v[18:19], v[243:244], s[10:11], -v[18:19]
	v_add_f64 v[14:15], v[138:139], v[14:15]
	v_add_f64 v[0:1], v[34:35], v[0:1]
	v_fma_f64 v[6:7], v[204:205], s[36:37], v[32:33]
	v_mul_f64 v[32:33], v[58:59], s[48:49]
	v_fma_f64 v[34:35], v[2:3], s[10:11], -v[24:25]
	v_add_f64 v[26:27], v[136:137], v[26:27]
	v_mul_f64 v[36:37], v[48:49], s[50:51]
	v_fma_f64 v[38:39], v[245:246], s[22:23], v[28:29]
	v_add_f64 v[22:23], v[30:31], v[22:23]
	v_fma_f64 v[28:29], v[245:246], s[22:23], -v[28:29]
	v_add_f64 v[14:15], v[18:19], v[14:15]
	v_mov_b32_e32 v46, v198
	v_mov_b32_e32 v47, v199
	v_mul_f64 v[30:31], v[46:47], s[50:51]
	v_fma_f64 v[40:41], v[200:201], s[22:23], -v[32:33]
	v_add_f64 v[26:27], v[34:35], v[26:27]
	v_mul_f64 v[34:35], v[50:51], s[18:19]
	v_fma_f64 v[42:43], v[241:242], s[36:37], v[36:37]
	v_add_f64 v[18:19], v[38:39], v[22:23]
	v_fma_f64 v[36:37], v[241:242], s[36:37], -v[36:37]
	v_add_f64 v[14:15], v[28:29], v[14:15]
	v_mov_b32_e32 v196, v253
	v_mov_b32_e32 v197, v254
	v_fma_f64 v[4:5], v[208:209], s[8:9], v[44:45]
	v_mul_f64 v[22:23], v[216:217], s[18:19]
	v_fma_f64 v[38:39], v[212:213], s[36:37], -v[30:31]
	v_add_f64 v[26:27], v[40:41], v[26:27]
	v_mul_f64 v[40:41], v[196:197], s[52:53]
	v_fma_f64 v[44:45], v[239:240], s[8:9], v[34:35]
	v_add_f64 v[18:19], v[42:43], v[18:19]
	v_fma_f64 v[34:35], v[239:240], s[8:9], -v[34:35]
	v_fma_f64 v[16:17], v[192:193], s[30:31], v[16:17]
	v_add_f64 v[14:15], v[36:37], v[14:15]
	v_mul_f64 v[12:13], v[72:73], s[38:39]
	v_mul_f64 v[28:29], v[206:207], s[52:53]
	v_fma_f64 v[42:43], v[210:211], s[8:9], -v[22:23]
	v_add_f64 v[26:27], v[38:39], v[26:27]
	v_fma_f64 v[38:39], v[237:238], s[34:35], v[40:41]
	v_add_f64 v[18:19], v[44:45], v[18:19]
	v_fma_f64 v[40:41], v[237:238], s[34:35], -v[40:41]
	v_fma_f64 v[24:25], v[2:3], s[10:11], v[24:25]
	v_add_f64 v[16:17], v[136:137], v[16:17]
	v_add_f64 v[14:15], v[34:35], v[14:15]
	v_add_f64 v[0:1], v[4:5], v[0:1]
	v_mul_f64 v[4:5], v[54:55], s[26:27]
	v_fma_f64 v[20:21], v[235:236], s[20:21], v[12:13]
	v_mul_f64 v[36:37], v[194:195], s[38:39]
	v_fma_f64 v[44:45], v[214:215], s[34:35], -v[28:29]
	v_add_f64 v[26:27], v[42:43], v[26:27]
	v_add_f64 v[18:19], v[38:39], v[18:19]
	v_fma_f64 v[12:13], v[235:236], s[20:21], -v[12:13]
	v_fma_f64 v[32:33], v[200:201], s[22:23], v[32:33]
	v_add_f64 v[16:17], v[24:25], v[16:17]
	v_add_f64 v[14:15], v[40:41], v[14:15]
	v_mov_b32_e32 v254, v203
	v_mov_b32_e32 v253, v202
	v_mul_f64 v[34:35], v[253:254], s[26:27]
	v_fma_f64 v[38:39], v[208:209], s[20:21], -v[36:37]
	v_add_f64 v[26:27], v[44:45], v[26:27]
	v_fma_f64 v[24:25], v[229:230], s[16:17], v[4:5]
	v_add_f64 v[18:19], v[20:21], v[18:19]
	v_fma_f64 v[4:5], v[229:230], s[16:17], -v[4:5]
	v_fma_f64 v[30:31], v[212:213], s[36:37], v[30:31]
	v_add_f64 v[16:17], v[32:33], v[16:17]
	v_add_f64 v[12:13], v[12:13], v[14:15]
	;; [unrolled: 1-line block ×3, first 2 shown]
	v_mul_f64 v[0:1], v[10:11], s[42:43]
	v_mul_f64 v[14:15], v[8:9], s[42:43]
	v_fma_f64 v[20:21], v[204:205], s[16:17], -v[34:35]
	v_add_f64 v[26:27], v[38:39], v[26:27]
	v_add_f64 v[40:41], v[24:25], v[18:19]
	v_fma_f64 v[6:7], v[210:211], s[8:9], v[22:23]
	v_add_f64 v[16:17], v[30:31], v[16:17]
	v_add_f64 v[198:199], v[4:5], v[12:13]
	v_mul_f64 v[12:13], v[52:53], s[18:19]
	v_fma_f64 v[18:19], v[247:248], s[34:35], v[0:1]
	v_mul_f64 v[22:23], v[56:57], s[18:19]
	v_fma_f64 v[24:25], v[192:193], s[34:35], -v[14:15]
	v_add_f64 v[38:39], v[20:21], v[26:27]
	v_fma_f64 v[20:21], v[214:215], s[34:35], v[28:29]
	v_add_f64 v[6:7], v[6:7], v[16:17]
	v_mul_f64 v[26:27], v[231:232], s[54:55]
	v_fma_f64 v[28:29], v[243:244], s[8:9], v[12:13]
	v_add_f64 v[18:19], v[138:139], v[18:19]
	v_mul_f64 v[30:31], v[58:59], s[54:55]
	v_fma_f64 v[32:33], v[2:3], s[8:9], -v[22:23]
	v_add_f64 v[24:25], v[136:137], v[24:25]
	v_fma_f64 v[4:5], v[204:205], s[16:17], v[34:35]
	v_fma_f64 v[16:17], v[208:209], s[20:21], v[36:37]
	v_add_f64 v[6:7], v[20:21], v[6:7]
	v_fma_f64 v[0:1], v[247:248], s[34:35], -v[0:1]
	v_mul_f64 v[20:21], v[48:49], s[40:41]
	v_fma_f64 v[34:35], v[245:246], s[30:31], v[26:27]
	v_add_f64 v[18:19], v[28:29], v[18:19]
	v_mul_f64 v[28:29], v[46:47], s[40:41]
	v_fma_f64 v[36:37], v[200:201], s[30:31], -v[30:31]
	v_add_f64 v[24:25], v[32:33], v[24:25]
	v_mov_b32_e32 v227, v217
	v_mov_b32_e32 v226, v216
	buffer_store_dword v222, off, s[64:67], 0 offset:472 ; 4-byte Folded Spill
	s_nop 0
	buffer_store_dword v223, off, s[64:67], 0 offset:476 ; 4-byte Folded Spill
	buffer_store_dword v224, off, s[64:67], 0 offset:480 ; 4-byte Folded Spill
	;; [unrolled: 1-line block ×4, first 2 shown]
	s_nop 0
	buffer_store_dword v39, off, s[64:67], 0 offset:460 ; 4-byte Folded Spill
	buffer_store_dword v40, off, s[64:67], 0 offset:464 ; 4-byte Folded Spill
	;; [unrolled: 1-line block ×3, first 2 shown]
	v_fma_f64 v[12:13], v[243:244], s[8:9], -v[12:13]
	v_add_f64 v[0:1], v[138:139], v[0:1]
	v_mul_f64 v[32:33], v[50:51], s[50:51]
	v_fma_f64 v[38:39], v[241:242], s[20:21], v[20:21]
	v_add_f64 v[18:19], v[34:35], v[18:19]
	v_mul_f64 v[34:35], v[226:227], s[50:51]
	v_fma_f64 v[40:41], v[212:213], s[20:21], -v[28:29]
	v_add_f64 v[24:25], v[36:37], v[24:25]
	v_mov_b32_e32 v234, v207
	v_mov_b32_e32 v233, v206
	v_fma_f64 v[26:27], v[245:246], s[30:31], -v[26:27]
	v_add_f64 v[0:1], v[12:13], v[0:1]
	v_mul_f64 v[12:13], v[196:197], s[24:25]
	v_fma_f64 v[36:37], v[239:240], s[36:37], v[32:33]
	v_add_f64 v[18:19], v[38:39], v[18:19]
	v_mul_f64 v[38:39], v[233:234], s[24:25]
	v_fma_f64 v[42:43], v[210:211], s[36:37], -v[34:35]
	v_add_f64 v[24:25], v[40:41], v[24:25]
	v_mov_b32_e32 v223, v9
	v_mov_b32_e32 v222, v8
	;; [unrolled: 1-line block ×4, first 2 shown]
	v_fma_f64 v[20:21], v[241:242], s[20:21], -v[20:21]
	v_add_f64 v[0:1], v[26:27], v[0:1]
	v_mul_f64 v[26:27], v[8:9], s[56:57]
	v_fma_f64 v[40:41], v[237:238], s[10:11], v[12:13]
	v_add_f64 v[18:19], v[36:37], v[18:19]
	v_mul_f64 v[36:37], v[194:195], s[56:57]
	v_fma_f64 v[44:45], v[214:215], s[10:11], -v[38:39]
	v_add_f64 v[24:25], v[42:43], v[24:25]
	v_mov_b32_e32 v203, v53
	v_mov_b32_e32 v202, v52
	;; [unrolled: 1-line block ×10, first 2 shown]
	v_fma_f64 v[32:33], v[239:240], s[36:37], -v[32:33]
	v_add_f64 v[0:1], v[20:21], v[0:1]
	v_mul_f64 v[20:21], v[48:49], s[48:49]
	v_fma_f64 v[42:43], v[235:236], s[16:17], v[26:27]
	v_add_f64 v[18:19], v[40:41], v[18:19]
	v_mul_f64 v[40:41], v[253:254], s[48:49]
	v_fma_f64 v[46:47], v[208:209], s[16:17], -v[36:37]
	v_add_f64 v[24:25], v[44:45], v[24:25]
	v_fma_f64 v[12:13], v[237:238], s[10:11], -v[12:13]
	v_add_f64 v[0:1], v[32:33], v[0:1]
	v_add_f64 v[6:7], v[16:17], v[6:7]
	v_fma_f64 v[16:17], v[229:230], s[22:23], v[20:21]
	v_add_f64 v[18:19], v[42:43], v[18:19]
	v_fma_f64 v[14:15], v[192:193], s[34:35], v[14:15]
	v_fma_f64 v[32:33], v[204:205], s[22:23], -v[40:41]
	v_add_f64 v[24:25], v[46:47], v[24:25]
	v_mov_b32_e32 v207, v197
	v_mov_b32_e32 v206, v196
	v_add_f64 v[0:1], v[12:13], v[0:1]
	v_add_f64 v[196:197], v[4:5], v[6:7]
	;; [unrolled: 1-line block ×4, first 2 shown]
	buffer_store_dword v196, off, s[64:67], 0 offset:504 ; 4-byte Folded Spill
	s_nop 0
	buffer_store_dword v197, off, s[64:67], 0 offset:508 ; 4-byte Folded Spill
	buffer_store_dword v198, off, s[64:67], 0 offset:512 ; 4-byte Folded Spill
	;; [unrolled: 1-line block ×3, first 2 shown]
	v_add_f64 v[14:15], v[32:33], v[24:25]
	buffer_store_dword v14, off, s[64:67], 0 offset:488 ; 4-byte Folded Spill
	s_nop 0
	buffer_store_dword v15, off, s[64:67], 0 offset:492 ; 4-byte Folded Spill
	buffer_store_dword v16, off, s[64:67], 0 offset:496 ; 4-byte Folded Spill
	;; [unrolled: 1-line block ×4, first 2 shown]
	s_nop 0
	buffer_store_dword v57, off, s[64:67], 0 offset:540 ; 4-byte Folded Spill
	v_mov_b32_e32 v250, v59
	v_mov_b32_e32 v249, v58
	buffer_store_dword v249, off, s[64:67], 0 offset:544 ; 4-byte Folded Spill
	s_nop 0
	buffer_store_dword v250, off, s[64:67], 0 offset:548 ; 4-byte Folded Spill
	v_mov_b32_e32 v55, v53
	v_mov_b32_e32 v54, v52
	;; [unrolled: 1-line block ×4, first 2 shown]
	buffer_store_dword v52, off, s[64:67], 0 offset:552 ; 4-byte Folded Spill
	s_nop 0
	buffer_store_dword v53, off, s[64:67], 0 offset:556 ; 4-byte Folded Spill
	v_mul_f64 v[6:7], v[10:11], s[50:51]
	v_fma_f64 v[26:27], v[235:236], s[16:17], -v[26:27]
	v_fma_f64 v[4:5], v[2:3], s[8:9], v[22:23]
	v_fma_f64 v[14:15], v[229:230], s[22:23], -v[20:21]
	v_mul_f64 v[18:19], v[202:203], s[26:27]
	v_mov_b32_e32 v217, v51
	v_mov_b32_e32 v216, v50
	;; [unrolled: 1-line block ×3, first 2 shown]
	v_fma_f64 v[20:21], v[247:248], s[36:37], v[6:7]
	s_mov_b32 s53, 0x3fc7851a
	s_mov_b32 s52, s18
	v_mov_b32_e32 v51, v223
	v_add_f64 v[0:1], v[26:27], v[0:1]
	v_fma_f64 v[16:17], v[200:201], s[30:31], v[30:31]
	v_add_f64 v[4:5], v[4:5], v[12:13]
	v_mul_f64 v[22:23], v[50:51], s[50:51]
	v_mul_f64 v[24:25], v[54:55], s[52:53]
	v_fma_f64 v[26:27], v[243:244], s[16:17], v[18:19]
	v_add_f64 v[20:21], v[138:139], v[20:21]
	v_fma_f64 v[12:13], v[212:213], s[20:21], v[28:29]
	v_fma_f64 v[28:29], v[210:211], s[36:37], v[34:35]
	v_mul_f64 v[34:35], v[231:232], s[54:55]
	v_add_f64 v[4:5], v[16:17], v[4:5]
	v_fma_f64 v[16:17], v[204:205], s[22:23], v[40:41]
	v_fma_f64 v[32:33], v[192:193], s[36:37], -v[22:23]
	v_fma_f64 v[40:41], v[245:246], s[8:9], v[24:25]
	v_add_f64 v[20:21], v[26:27], v[20:21]
	v_mul_f64 v[42:43], v[216:217], s[48:49]
	v_mov_b32_e32 v196, v206
	v_fma_f64 v[44:45], v[241:242], s[30:31], v[34:35]
	v_add_f64 v[4:5], v[12:13], v[4:5]
	v_fma_f64 v[12:13], v[214:215], s[10:11], v[38:39]
	v_add_f64 v[32:33], v[136:137], v[32:33]
	v_mov_b32_e32 v197, v207
	v_add_f64 v[20:21], v[40:41], v[20:21]
	v_fma_f64 v[46:47], v[239:240], s[22:23], v[42:43]
	v_fma_f64 v[6:7], v[247:248], s[36:37], -v[6:7]
	v_fma_f64 v[18:19], v[243:244], s[16:17], -v[18:19]
	v_add_f64 v[4:5], v[28:29], v[4:5]
	v_fma_f64 v[28:29], v[208:209], s[16:17], v[36:37]
	v_fma_f64 v[24:25], v[245:246], s[8:9], -v[24:25]
	v_fma_f64 v[34:35], v[241:242], s[30:31], -v[34:35]
	v_add_f64 v[20:21], v[44:45], v[20:21]
	v_fma_f64 v[22:23], v[192:193], s[36:37], v[22:23]
	v_add_f64 v[6:7], v[138:139], v[6:7]
	v_mov_b32_e32 v72, v226
	v_add_f64 v[4:5], v[12:13], v[4:5]
	v_mul_f64 v[12:13], v[226:227], s[48:49]
	v_mov_b32_e32 v73, v227
	v_mov_b32_e32 v206, v233
	v_add_f64 v[20:21], v[46:47], v[20:21]
	v_mul_f64 v[46:47], v[233:234], s[38:39]
	v_add_f64 v[6:7], v[18:19], v[6:7]
	v_add_f64 v[22:23], v[136:137], v[22:23]
	;; [unrolled: 1-line block ×3, first 2 shown]
	v_fma_f64 v[222:223], v[210:211], s[22:23], -v[12:13]
	v_mov_b32_e32 v207, v234
	v_fma_f64 v[12:13], v[210:211], s[22:23], v[12:13]
	v_mov_b32_e32 v59, v9
	v_fma_f64 v[18:19], v[214:215], s[20:21], -v[46:47]
	v_add_f64 v[24:25], v[24:25], v[6:7]
	v_add_f64 v[6:7], v[14:15], v[0:1]
	;; [unrolled: 1-line block ×3, first 2 shown]
	v_mul_f64 v[16:17], v[10:11], s[46:47]
	v_fma_f64 v[0:1], v[239:240], s[22:23], -v[42:43]
	v_mul_f64 v[42:43], v[54:55], s[26:27]
	v_mov_b32_e32 v58, v8
	v_mov_b32_e32 v199, v49
	;; [unrolled: 1-line block ×4, first 2 shown]
	v_mul_f64 v[30:31], v[56:57], s[26:27]
	v_mov_b32_e32 v74, v50
	v_fma_f64 v[46:47], v[214:215], s[20:21], v[46:47]
	v_mul_f64 v[26:27], v[249:250], s[52:53]
	v_fma_f64 v[226:227], v[245:246], s[16:17], v[42:43]
	buffer_store_dword v4, off, s[64:67], 0 offset:520 ; 4-byte Folded Spill
	s_nop 0
	buffer_store_dword v5, off, s[64:67], 0 offset:524 ; 4-byte Folded Spill
	buffer_store_dword v6, off, s[64:67], 0 offset:528 ; 4-byte Folded Spill
	;; [unrolled: 1-line block ×4, first 2 shown]
	v_mov_b32_e32 v4, v132
	v_fma_f64 v[38:39], v[2:3], s[16:17], -v[30:31]
	v_mul_f64 v[36:37], v[52:53], s[54:55]
	v_fma_f64 v[30:31], v[2:3], s[16:17], v[30:31]
	v_fma_f64 v[40:41], v[200:201], s[8:9], -v[26:27]
	v_fma_f64 v[26:27], v[200:201], s[8:9], v[26:27]
	v_mul_f64 v[251:252], v[52:53], s[18:19]
	v_mul_f64 v[52:53], v[206:207], s[54:55]
	v_mov_b32_e32 v5, v133
	v_add_f64 v[32:33], v[38:39], v[32:33]
	v_mul_f64 v[38:39], v[196:197], s[38:39]
	v_fma_f64 v[44:45], v[212:213], s[30:31], -v[36:37]
	v_add_f64 v[22:23], v[30:31], v[22:23]
	v_mul_f64 v[30:31], v[231:232], s[18:19]
	v_fma_f64 v[36:37], v[212:213], s[30:31], v[36:37]
	v_mov_b32_e32 v6, v134
	v_mov_b32_e32 v7, v135
	v_add_f64 v[32:33], v[40:41], v[32:33]
	v_mul_f64 v[40:41], v[8:9], s[42:43]
	v_fma_f64 v[220:221], v[237:238], s[20:21], v[38:39]
	v_add_f64 v[22:23], v[26:27], v[22:23]
	v_mul_f64 v[26:27], v[216:217], s[58:59]
	v_mov_b32_e32 v8, v54
	v_mov_b32_e32 v9, v55
	;; [unrolled: 1-line block ×3, first 2 shown]
	v_add_f64 v[32:33], v[44:45], v[32:33]
	v_mul_f64 v[44:45], v[48:49], s[24:25]
	v_fma_f64 v[224:225], v[235:236], s[34:35], v[40:41]
	v_add_f64 v[20:21], v[220:221], v[20:21]
	v_mul_f64 v[220:221], v[194:195], s[42:43]
	v_add_f64 v[22:23], v[36:37], v[22:23]
	v_mul_f64 v[36:37], v[196:197], s[54:55]
	v_fma_f64 v[48:49], v[212:213], s[8:9], -v[251:252]
	v_add_f64 v[32:33], v[222:223], v[32:33]
	v_fma_f64 v[28:29], v[229:230], s[10:11], v[44:45]
	v_mul_f64 v[222:223], v[253:254], s[24:25]
	v_add_f64 v[20:21], v[224:225], v[20:21]
	v_fma_f64 v[224:225], v[208:209], s[34:35], -v[220:221]
	v_add_f64 v[12:13], v[12:13], v[22:23]
	v_mul_f64 v[22:23], v[58:59], s[44:45]
	v_fma_f64 v[220:221], v[208:209], s[34:35], v[220:221]
	v_add_f64 v[18:19], v[18:19], v[32:33]
	v_fma_f64 v[32:33], v[237:238], s[20:21], -v[38:39]
	v_fma_f64 v[38:39], v[247:248], s[22:23], v[16:17]
	v_add_f64 v[14:15], v[28:29], v[20:21]
	v_add_f64 v[20:21], v[34:35], v[24:25]
	v_mul_f64 v[34:35], v[202:203], s[42:43]
	v_fma_f64 v[28:29], v[229:230], s[10:11], -v[44:45]
	v_add_f64 v[12:13], v[46:47], v[12:13]
	v_add_f64 v[18:19], v[224:225], v[18:19]
	v_mul_f64 v[46:47], v[198:199], s[40:41]
	v_add_f64 v[38:39], v[138:139], v[38:39]
	v_fma_f64 v[16:17], v[247:248], s[22:23], -v[16:17]
	v_add_f64 v[0:1], v[0:1], v[20:21]
	v_fma_f64 v[20:21], v[235:236], s[34:35], -v[40:41]
	v_mul_f64 v[40:41], v[50:51], s[46:47]
	v_fma_f64 v[44:45], v[243:244], s[34:35], v[34:35]
	v_fma_f64 v[24:25], v[204:205], s[10:11], -v[222:223]
	v_add_f64 v[220:221], v[220:221], v[12:13]
	v_mov_b32_e32 v134, v130
	v_add_f64 v[16:17], v[138:139], v[16:17]
	v_add_f64 v[0:1], v[32:33], v[0:1]
	v_mul_f64 v[32:33], v[56:57], s[42:43]
	v_fma_f64 v[224:225], v[192:193], s[22:23], -v[40:41]
	v_add_f64 v[38:39], v[44:45], v[38:39]
	v_mul_f64 v[44:45], v[249:250], s[26:27]
	v_fma_f64 v[249:250], v[241:242], s[8:9], v[30:31]
	v_fma_f64 v[30:31], v[241:242], s[8:9], -v[30:31]
	v_add_f64 v[12:13], v[24:25], v[18:19]
	v_add_f64 v[0:1], v[20:21], v[0:1]
	v_fma_f64 v[233:234], v[2:3], s[34:35], -v[32:33]
	v_add_f64 v[224:225], v[136:137], v[224:225]
	v_add_f64 v[38:39], v[226:227], v[38:39]
	v_fma_f64 v[226:227], v[200:201], s[16:17], -v[44:45]
	v_mul_f64 v[20:21], v[194:195], s[44:45]
	v_mov_b32_e32 v133, v129
	v_mov_b32_e32 v132, v128
	;; [unrolled: 1-line block ×4, first 2 shown]
	v_add_f64 v[224:225], v[233:234], v[224:225]
	v_fma_f64 v[233:234], v[239:240], s[10:11], v[26:27]
	v_add_f64 v[38:39], v[249:250], v[38:39]
	v_mul_f64 v[249:250], v[72:73], s[58:59]
	v_fma_f64 v[56:57], v[208:209], s[36:37], -v[20:21]
	v_fma_f64 v[20:21], v[208:209], s[36:37], v[20:21]
	v_mov_b32_e32 v129, v125
	v_mov_b32_e32 v128, v124
	v_add_f64 v[50:51], v[226:227], v[224:225]
	v_fma_f64 v[224:225], v[237:238], s[30:31], v[36:37]
	v_add_f64 v[38:39], v[233:234], v[38:39]
	v_fma_f64 v[54:55], v[210:211], s[10:11], -v[249:250]
	v_add_f64 v[226:227], v[28:29], v[0:1]
	v_fma_f64 v[0:1], v[243:244], s[34:35], -v[34:35]
	v_fma_f64 v[34:35], v[192:193], s[22:23], v[40:41]
	v_mul_f64 v[40:41], v[10:11], s[38:39]
	v_add_f64 v[48:49], v[48:49], v[50:51]
	v_fma_f64 v[50:51], v[235:236], s[36:37], v[22:23]
	v_add_f64 v[38:39], v[224:225], v[38:39]
	v_fma_f64 v[224:225], v[214:215], s[30:31], -v[52:53]
	v_fma_f64 v[10:11], v[237:238], s[30:31], -v[36:37]
	v_add_f64 v[0:1], v[0:1], v[16:17]
	v_fma_f64 v[16:17], v[239:240], s[10:11], -v[26:27]
	v_fma_f64 v[26:27], v[2:3], s[34:35], v[32:33]
	v_add_f64 v[48:49], v[54:55], v[48:49]
	v_fma_f64 v[54:55], v[204:205], s[10:11], v[222:223]
	v_fma_f64 v[222:223], v[229:230], s[20:21], v[46:47]
	v_add_f64 v[38:39], v[50:51], v[38:39]
	v_add_f64 v[32:33], v[136:137], v[34:35]
	v_mul_f64 v[34:35], v[202:203], s[46:47]
	v_fma_f64 v[36:37], v[247:248], s[20:21], v[40:41]
	v_fma_f64 v[28:29], v[229:230], s[20:21], -v[46:47]
	v_add_f64 v[48:49], v[224:225], v[48:49]
	v_add_f64 v[224:225], v[54:55], v[220:221]
	v_fma_f64 v[22:23], v[235:236], s[36:37], -v[22:23]
	v_add_f64 v[233:234], v[222:223], v[38:39]
	v_fma_f64 v[38:39], v[245:246], s[16:17], -v[42:43]
	v_fma_f64 v[46:47], v[243:244], s[22:23], v[34:35]
	v_add_f64 v[36:37], v[138:139], v[36:37]
	buffer_load_dword v220, off, s[64:67], 0 offset:224 ; 4-byte Folded Reload
	buffer_load_dword v221, off, s[64:67], 0 offset:228 ; 4-byte Folded Reload
	;; [unrolled: 1-line block ×4, first 2 shown]
	v_add_f64 v[24:25], v[56:57], v[48:49]
	v_add_f64 v[26:27], v[26:27], v[32:33]
	v_mul_f64 v[32:33], v[8:9], s[50:51]
	v_mul_f64 v[8:9], v[72:73], s[28:29]
	v_add_f64 v[0:1], v[38:39], v[0:1]
	v_fma_f64 v[38:39], v[200:201], s[16:17], v[44:45]
	v_add_f64 v[36:37], v[46:47], v[36:37]
	v_add_f64 v[42:43], v[138:139], v[142:143]
	v_add_f64 v[44:45], v[136:137], v[140:141]
	v_mul_f64 v[50:51], v[253:254], s[40:41]
	v_fma_f64 v[40:41], v[247:248], s[20:21], -v[40:41]
	v_fma_f64 v[34:35], v[243:244], s[22:23], -v[34:35]
	v_add_f64 v[0:1], v[30:31], v[0:1]
	v_fma_f64 v[30:31], v[212:213], s[8:9], v[251:252]
	buffer_load_dword v251, off, s[64:67], 0 offset:372 ; 4-byte Folded Reload
	buffer_load_dword v46, off, s[64:67], 0 offset:364 ; 4-byte Folded Reload
	;; [unrolled: 1-line block ×3, first 2 shown]
	v_add_f64 v[42:43], v[42:43], v[146:147]
	v_add_f64 v[44:45], v[44:45], v[144:145]
	v_add_f64 v[26:27], v[38:39], v[26:27]
	v_fma_f64 v[18:19], v[204:205], s[20:21], -v[50:51]
	v_add_f64 v[0:1], v[16:17], v[0:1]
	v_fma_f64 v[16:17], v[210:211], s[10:11], v[249:250]
	buffer_load_dword v249, off, s[64:67], 0 offset:104 ; 4-byte Folded Reload
	buffer_load_dword v54, off, s[64:67], 0 offset:552 ; 4-byte Folded Reload
	buffer_load_dword v55, off, s[64:67], 0 offset:556 ; 4-byte Folded Reload
	buffer_load_dword v56, off, s[64:67], 0 offset:536 ; 4-byte Folded Reload
	buffer_load_dword v57, off, s[64:67], 0 offset:540 ; 4-byte Folded Reload
	buffer_load_dword v72, off, s[64:67], 0 offset:544 ; 4-byte Folded Reload
	buffer_load_dword v73, off, s[64:67], 0 offset:548 ; 4-byte Folded Reload
	v_add_f64 v[42:43], v[42:43], v[150:151]
	v_add_f64 v[44:45], v[44:45], v[148:149]
	;; [unrolled: 1-line block ×4, first 2 shown]
	v_fma_f64 v[10:11], v[214:215], s[30:31], v[52:53]
	v_add_f64 v[40:41], v[138:139], v[40:41]
	v_mul_f64 v[38:39], v[231:232], s[42:43]
	v_fma_f64 v[48:49], v[245:246], s[36:37], v[32:33]
	v_add_f64 v[42:43], v[42:43], v[154:155]
	v_add_f64 v[44:45], v[44:45], v[152:153]
	;; [unrolled: 1-line block ×4, first 2 shown]
	v_fma_f64 v[32:33], v[245:246], s[36:37], -v[32:33]
	v_add_f64 v[34:35], v[34:35], v[40:41]
	v_mul_f64 v[30:31], v[216:217], s[28:29]
	v_add_f64 v[36:37], v[48:49], v[36:37]
	v_add_f64 v[22:23], v[42:43], v[158:159]
	;; [unrolled: 1-line block ×5, first 2 shown]
	v_fma_f64 v[28:29], v[204:205], s[20:21], v[50:51]
	v_mul_f64 v[50:51], v[74:75], s[38:39]
	v_mul_f64 v[44:45], v[58:59], s[24:25]
	v_add_f64 v[32:33], v[32:33], v[34:35]
	v_add_f64 v[0:1], v[22:23], v[166:167]
	v_add_f64 v[22:23], v[42:43], v[164:165]
	v_mul_f64 v[26:27], v[196:197], s[26:27]
	v_fma_f64 v[48:49], v[239:240], s[30:31], v[30:31]
	v_mul_f64 v[52:53], v[206:207], s[26:27]
	v_fma_f64 v[58:59], v[192:193], s[20:21], v[50:51]
	v_fma_f64 v[50:51], v[192:193], s[20:21], -v[50:51]
	v_fma_f64 v[30:31], v[239:240], s[30:31], -v[30:31]
	v_add_f64 v[0:1], v[0:1], v[162:163]
	v_add_f64 v[22:23], v[22:23], v[160:161]
	;; [unrolled: 1-line block ×3, first 2 shown]
	v_mul_f64 v[20:21], v[198:199], s[18:19]
	v_fma_f64 v[42:43], v[235:236], s[10:11], v[44:45]
	v_add_f64 v[58:59], v[136:137], v[58:59]
	v_add_f64 v[50:51], v[136:137], v[50:51]
	;; [unrolled: 1-line block ×5, first 2 shown]
	v_mov_b32_e32 v127, v123
	v_mov_b32_e32 v126, v122
	v_mov_b32_e32 v125, v121
	v_mov_b32_e32 v124, v120
	v_mov_b32_e32 v123, v119
	v_mov_b32_e32 v122, v118
	v_add_f64 v[0:1], v[0:1], v[174:175]
	v_add_f64 v[22:23], v[22:23], v[172:173]
	v_mov_b32_e32 v121, v117
	v_mov_b32_e32 v120, v116
	v_mov_b32_e32 v119, v115
	v_mov_b32_e32 v118, v114
	v_mov_b32_e32 v117, v113
	v_mov_b32_e32 v116, v112
	v_add_f64 v[0:1], v[0:1], v[178:179]
	v_add_f64 v[22:23], v[22:23], v[176:177]
	;; [unrolled: 8-line block ×3, first 2 shown]
	v_mov_b32_e32 v109, v105
	v_mov_b32_e32 v108, v104
	v_mov_b32_e32 v107, v103
	s_waitcnt vmcnt(8)
	v_mov_b32_e32 v250, v46
	s_waitcnt vmcnt(7)
	v_fma_f64 v[46:47], v[241:242], s[34:35], v[38:39]
	v_fma_f64 v[38:39], v[241:242], s[34:35], -v[38:39]
	v_add_f64 v[0:1], v[0:1], v[186:187]
	v_add_f64 v[22:23], v[22:23], v[184:185]
	v_mov_b32_e32 v106, v102
	v_mov_b32_e32 v105, v101
	;; [unrolled: 1-line block ×3, first 2 shown]
	s_waitcnt vmcnt(4)
	v_mul_f64 v[54:55], v[54:55], s[42:43]
	s_waitcnt vmcnt(2)
	v_mul_f64 v[56:57], v[56:57], s[46:47]
	;; [unrolled: 2-line block ×3, first 2 shown]
	v_add_f64 v[36:37], v[46:47], v[36:37]
	v_add_f64 v[32:33], v[38:39], v[32:33]
	v_fma_f64 v[38:39], v[210:211], s[30:31], v[8:9]
	v_fma_f64 v[8:9], v[210:211], s[30:31], -v[8:9]
	v_add_f64 v[0:1], v[0:1], v[190:191]
	v_fma_f64 v[34:35], v[212:213], s[34:35], v[54:55]
	v_fma_f64 v[138:139], v[2:3], s[22:23], v[56:57]
	v_fma_f64 v[2:3], v[2:3], s[22:23], -v[56:57]
	v_fma_f64 v[40:41], v[200:201], s[36:37], v[140:141]
	v_add_f64 v[22:23], v[22:23], v[188:189]
	v_fma_f64 v[46:47], v[237:238], s[16:17], v[26:27]
	v_add_f64 v[36:37], v[48:49], v[36:37]
	v_mul_f64 v[48:49], v[194:195], s[24:25]
	v_fma_f64 v[26:27], v[237:238], s[16:17], -v[26:27]
	v_add_f64 v[56:57], v[138:139], v[58:59]
	v_fma_f64 v[58:59], v[200:201], s[36:37], -v[140:141]
	v_add_f64 v[2:3], v[2:3], v[50:51]
	;; [unrolled: 2-line block ×3, first 2 shown]
	v_fma_f64 v[32:33], v[214:215], s[16:17], v[52:53]
	v_add_f64 v[0:1], v[0:1], v[70:71]
	v_add_f64 v[22:23], v[22:23], v[68:69]
	;; [unrolled: 1-line block ×5, first 2 shown]
	v_mul_f64 v[46:47], v[253:254], s[18:19]
	v_add_f64 v[26:27], v[26:27], v[30:31]
	v_fma_f64 v[30:31], v[208:209], s[10:11], v[48:49]
	v_add_f64 v[0:1], v[0:1], v[66:67]
	v_add_f64 v[22:23], v[22:23], v[64:65]
	;; [unrolled: 1-line block ×3, first 2 shown]
	buffer_load_dword v198, off, s[64:67], 0 offset:144 ; 4-byte Folded Reload
	buffer_load_dword v199, off, s[64:67], 0 offset:148 ; 4-byte Folded Reload
	;; [unrolled: 1-line block ×4, first 2 shown]
	v_add_f64 v[2:3], v[50:51], v[2:3]
	buffer_load_dword v56, off, s[64:67], 0 offset:260 ; 4-byte Folded Reload
	buffer_load_dword v57, off, s[64:67], 0 offset:264 ; 4-byte Folded Reload
	;; [unrolled: 1-line block ×8, first 2 shown]
	v_mov_b32_e32 v103, v99
	v_add_f64 v[138:139], v[0:1], v[62:63]
	v_add_f64 v[136:137], v[22:23], v[60:61]
	;; [unrolled: 1-line block ×3, first 2 shown]
	v_fma_f64 v[38:39], v[214:215], s[16:17], -v[52:53]
	v_add_f64 v[2:3], v[8:9], v[2:3]
	v_fma_f64 v[8:9], v[235:236], s[10:11], -v[44:45]
	buffer_load_dword v214, off, s[64:67], 0 offset:208 ; 4-byte Folded Reload
	buffer_load_dword v215, off, s[64:67], 0 offset:212 ; 4-byte Folded Reload
	;; [unrolled: 1-line block ×10, first 2 shown]
	v_mov_b32_e32 v102, v98
	v_add_f64 v[32:33], v[32:33], v[34:35]
	v_fma_f64 v[34:35], v[208:209], s[10:11], -v[48:49]
	v_add_f64 v[2:3], v[38:39], v[2:3]
	v_fma_f64 v[38:39], v[229:230], s[8:9], -v[20:21]
	v_add_f64 v[8:9], v[8:9], v[26:27]
	v_fma_f64 v[26:27], v[204:205], s[8:9], v[46:47]
	v_fma_f64 v[20:21], v[229:230], s[8:9], v[20:21]
	buffer_load_dword v255, off, s[64:67], 0 offset:256 ; 4-byte Folded Reload
	buffer_load_dword v206, off, s[64:67], 0 offset:176 ; 4-byte Folded Reload
	;; [unrolled: 1-line block ×5, first 2 shown]
	v_add_f64 v[30:31], v[30:31], v[32:33]
	v_add_f64 v[32:33], v[42:43], v[36:37]
	v_fma_f64 v[36:37], v[204:205], s[8:9], -v[46:47]
	v_add_f64 v[34:35], v[34:35], v[2:3]
	v_add_f64 v[2:3], v[38:39], v[8:9]
	;; [unrolled: 1-line block ×3, first 2 shown]
	v_mul_lo_u16_e32 v16, 17, v251
	v_lshlrev_b32_e32 v16, 4, v16
	v_add_f64 v[0:1], v[26:27], v[30:31]
	buffer_load_dword v64, off, s[64:67], 0 offset:292 ; 4-byte Folded Reload
	buffer_load_dword v65, off, s[64:67], 0 offset:296 ; 4-byte Folded Reload
	;; [unrolled: 1-line block ×12, first 2 shown]
	v_add_f64 v[142:143], v[20:21], v[32:33]
	v_add_f64 v[140:141], v[36:37], v[34:35]
	buffer_load_dword v35, off, s[64:67], 0 offset:128 ; 4-byte Folded Reload
	buffer_load_dword v36, off, s[64:67], 0 offset:132 ; 4-byte Folded Reload
	;; [unrolled: 1-line block ×8, first 2 shown]
	ds_write_b128 v16, v[136:139]
	ds_write_b128 v16, v[0:3] offset:16
	ds_write_b128 v16, v[8:11] offset:32
	;; [unrolled: 1-line block ×3, first 2 shown]
	buffer_load_dword v227, off, s[64:67], 0 offset:324 ; 4-byte Folded Reload
	buffer_load_dword v228, off, s[64:67], 0 offset:328 ; 4-byte Folded Reload
	;; [unrolled: 1-line block ×11, first 2 shown]
	v_mov_b32_e32 v101, v97
	v_mov_b32_e32 v100, v96
	;; [unrolled: 1-line block ×66, first 2 shown]
	s_waitcnt vmcnt(0)
	ds_write_b128 v16, v[0:3] offset:64
	buffer_load_dword v0, off, s[64:67], 0 offset:504 ; 4-byte Folded Reload
	buffer_load_dword v1, off, s[64:67], 0 offset:508 ; 4-byte Folded Reload
	buffer_load_dword v2, off, s[64:67], 0 offset:512 ; 4-byte Folded Reload
	buffer_load_dword v3, off, s[64:67], 0 offset:516 ; 4-byte Folded Reload
	s_waitcnt vmcnt(0)
	ds_write_b128 v16, v[0:3] offset:80
	buffer_load_dword v0, off, s[64:67], 0 offset:472 ; 4-byte Folded Reload
	buffer_load_dword v1, off, s[64:67], 0 offset:476 ; 4-byte Folded Reload
	buffer_load_dword v2, off, s[64:67], 0 offset:480 ; 4-byte Folded Reload
	buffer_load_dword v3, off, s[64:67], 0 offset:484 ; 4-byte Folded Reload
	;; [unrolled: 6-line block ×9, first 2 shown]
	s_waitcnt vmcnt(0)
	ds_write_b128 v16, v[0:3] offset:208
	ds_write_b128 v16, v[12:15] offset:224
	;; [unrolled: 1-line block ×3, first 2 shown]
	buffer_load_dword v231, off, s[64:67], 0 offset:340 ; 4-byte Folded Reload
	buffer_load_dword v232, off, s[64:67], 0 offset:344 ; 4-byte Folded Reload
	;; [unrolled: 1-line block ×4, first 2 shown]
	ds_write_b128 v16, v[140:143] offset:256
.LBB0_13:
	s_or_b64 exec, exec, s[2:3]
	s_waitcnt vmcnt(0) lgkmcnt(0)
	s_barrier
	ds_read_b128 v[0:3], v218 offset:13328
	ds_read_b128 v[4:7], v218
	ds_read_b128 v[8:11], v218 offset:1904
	ds_read_b128 v[12:15], v218 offset:15232
	;; [unrolled: 1-line block ×8, first 2 shown]
	s_waitcnt lgkmcnt(9)
	v_mul_f64 v[16:17], v[37:38], v[2:3]
	v_mul_f64 v[18:19], v[37:38], v[0:1]
	s_waitcnt lgkmcnt(6)
	v_mul_f64 v[20:21], v[33:34], v[14:15]
	v_mul_f64 v[22:23], v[33:34], v[12:13]
	;; [unrolled: 3-line block ×3, first 2 shown]
	ds_read_b128 v[160:163], v218 offset:7616
	ds_read_b128 v[164:167], v218 offset:9520
	;; [unrolled: 1-line block ×4, first 2 shown]
	s_waitcnt lgkmcnt(0)
	v_fma_f64 v[0:1], v[35:36], v[0:1], v[16:17]
	v_fma_f64 v[2:3], v[35:36], v[2:3], -v[18:19]
	v_mul_f64 v[16:17], v[204:205], v[138:139]
	v_mul_f64 v[18:19], v[204:205], v[136:137]
	v_fma_f64 v[12:13], v[31:32], v[12:13], v[20:21]
	v_fma_f64 v[14:15], v[31:32], v[14:15], -v[22:23]
	v_mul_f64 v[20:21], v[200:201], v[150:151]
	v_mul_f64 v[22:23], v[200:201], v[148:149]
	v_add_f64 v[0:1], v[4:5], -v[0:1]
	v_add_f64 v[2:3], v[6:7], -v[2:3]
	v_fma_f64 v[16:17], v[202:203], v[136:137], v[16:17]
	v_fma_f64 v[18:19], v[202:203], v[138:139], -v[18:19]
	v_add_f64 v[12:13], v[8:9], -v[12:13]
	v_add_f64 v[14:15], v[10:11], -v[14:15]
	v_fma_f64 v[32:33], v[198:199], v[148:149], v[20:21]
	v_fma_f64 v[34:35], v[198:199], v[150:151], -v[22:23]
	v_mul_f64 v[20:21], v[212:213], v[174:175]
	v_mul_f64 v[22:23], v[212:213], v[172:173]
	v_add_f64 v[16:17], v[140:141], -v[16:17]
	v_add_f64 v[18:19], v[142:143], -v[18:19]
	v_fma_f64 v[36:37], v[206:207], v[152:153], v[24:25]
	v_fma_f64 v[38:39], v[206:207], v[154:155], -v[26:27]
	v_add_f64 v[24:25], v[144:145], -v[32:33]
	v_add_f64 v[26:27], v[146:147], -v[34:35]
	v_fma_f64 v[4:5], v[4:5], 2.0, -v[0:1]
	v_fma_f64 v[6:7], v[6:7], 2.0, -v[2:3]
	;; [unrolled: 1-line block ×4, first 2 shown]
	v_fma_f64 v[44:45], v[210:211], v[172:173], v[20:21]
	v_fma_f64 v[46:47], v[210:211], v[174:175], -v[22:23]
	v_fma_f64 v[20:21], v[140:141], 2.0, -v[16:17]
	v_fma_f64 v[22:23], v[142:143], 2.0, -v[18:19]
	;; [unrolled: 1-line block ×4, first 2 shown]
	s_barrier
	ds_write_b128 v224, v[4:7]
	ds_write_b128 v224, v[0:3] offset:272
	ds_write_b128 v225, v[8:11]
	ds_write_b128 v225, v[12:15] offset:272
	;; [unrolled: 2-line block ×4, first 2 shown]
	buffer_load_dword v0, off, s[64:67], 0 offset:48 ; 4-byte Folded Reload
	v_mul_f64 v[28:29], v[216:217], v[170:171]
	v_mul_f64 v[30:31], v[216:217], v[168:169]
	s_mov_b32 s8, 0x37e14327
	s_mov_b32 s2, 0x36b3c0b5
	;; [unrolled: 1-line block ×6, first 2 shown]
	v_fma_f64 v[40:41], v[214:215], v[168:169], v[28:29]
	v_fma_f64 v[42:43], v[214:215], v[170:171], -v[30:31]
	v_add_f64 v[28:29], v[160:161], -v[36:37]
	v_add_f64 v[30:31], v[162:163], -v[38:39]
	;; [unrolled: 1-line block ×4, first 2 shown]
	s_mov_b32 s17, 0x3fe11646
	s_mov_b32 s11, 0xbfebfeb5
	v_add_f64 v[32:33], v[164:165], -v[40:41]
	v_add_f64 v[34:35], v[166:167], -v[42:43]
	v_fma_f64 v[140:141], v[160:161], 2.0, -v[28:29]
	v_fma_f64 v[142:143], v[162:163], 2.0, -v[30:31]
	;; [unrolled: 1-line block ×4, first 2 shown]
	s_mov_b32 s18, 0xaaaaaaaa
	s_mov_b32 s20, 0x5476071b
	v_fma_f64 v[144:145], v[164:165], 2.0, -v[32:33]
	v_fma_f64 v[146:147], v[166:167], 2.0, -v[34:35]
	s_mov_b32 s24, 0xb247c609
	s_mov_b32 s19, 0xbff2aaaa
	;; [unrolled: 1-line block ×10, first 2 shown]
	s_waitcnt vmcnt(0)
	ds_write_b128 v0, v[140:143]
	ds_write_b128 v0, v[28:31] offset:272
	buffer_load_dword v0, off, s[64:67], 0 offset:64 ; 4-byte Folded Reload
	s_waitcnt vmcnt(0)
	ds_write_b128 v0, v[144:147]
	ds_write_b128 v0, v[32:35] offset:272
	buffer_load_dword v0, off, s[64:67], 0 offset:56 ; 4-byte Folded Reload
	s_waitcnt vmcnt(0)
	ds_write_b128 v0, v[148:151]
	ds_write_b128 v0, v[36:39] offset:272
	s_waitcnt lgkmcnt(0)
	s_barrier
	ds_read_b128 v[0:3], v218
	ds_read_b128 v[4:7], v218 offset:1904
	ds_read_b128 v[8:11], v218 offset:3808
	;; [unrolled: 1-line block ×11, first 2 shown]
	buffer_load_dword v52, off, s[64:67], 0 offset:72 ; 4-byte Folded Reload
	buffer_load_dword v53, off, s[64:67], 0 offset:76 ; 4-byte Folded Reload
	;; [unrolled: 1-line block ×4, first 2 shown]
	s_waitcnt lgkmcnt(9)
	v_mul_f64 v[40:41], v[66:67], v[10:11]
	v_mul_f64 v[42:43], v[66:67], v[8:9]
	ds_read_b128 v[144:147], v218 offset:22848
	ds_read_b128 v[148:151], v218 offset:24752
	s_waitcnt lgkmcnt(9)
	v_mul_f64 v[44:45], v[62:63], v[18:19]
	v_mul_f64 v[46:47], v[62:63], v[16:17]
	s_waitcnt lgkmcnt(2)
	v_mul_f64 v[62:63], v[233:234], v[140:141]
	v_fma_f64 v[8:9], v[64:65], v[8:9], v[40:41]
	v_fma_f64 v[10:11], v[64:65], v[10:11], -v[42:43]
	buffer_load_dword v64, off, s[64:67], 0 offset:88 ; 4-byte Folded Reload
	buffer_load_dword v65, off, s[64:67], 0 offset:92 ; 4-byte Folded Reload
	buffer_load_dword v66, off, s[64:67], 0 offset:96 ; 4-byte Folded Reload
	buffer_load_dword v67, off, s[64:67], 0 offset:100 ; 4-byte Folded Reload
	v_fma_f64 v[16:17], v[60:61], v[16:17], v[44:45]
	v_fma_f64 v[18:19], v[60:61], v[18:19], -v[46:47]
	v_mul_f64 v[40:41], v[58:59], v[34:35]
	v_mul_f64 v[42:43], v[58:59], v[32:33]
	;; [unrolled: 1-line block ×5, first 2 shown]
	s_waitcnt vmcnt(0) lgkmcnt(0)
	s_barrier
	v_fma_f64 v[32:33], v[56:57], v[32:33], v[40:41]
	v_fma_f64 v[34:35], v[56:57], v[34:35], -v[42:43]
	v_fma_f64 v[40:41], v[68:69], v[136:137], v[44:45]
	v_fma_f64 v[42:43], v[68:69], v[138:139], -v[46:47]
	v_mul_f64 v[48:49], v[54:55], v[26:27]
	v_mul_f64 v[50:51], v[54:55], v[24:25]
	;; [unrolled: 1-line block ×3, first 2 shown]
	v_fma_f64 v[24:25], v[52:53], v[24:25], v[48:49]
	v_fma_f64 v[26:27], v[52:53], v[26:27], -v[50:51]
	v_mul_f64 v[48:49], v[86:87], v[146:147]
	v_mul_f64 v[50:51], v[86:87], v[144:145]
	;; [unrolled: 1-line block ×5, first 2 shown]
	v_fma_f64 v[44:45], v[84:85], v[144:145], v[48:49]
	v_fma_f64 v[46:47], v[84:85], v[146:147], -v[50:51]
	v_fma_f64 v[48:49], v[227:228], v[12:13], v[52:53]
	v_fma_f64 v[50:51], v[227:228], v[14:15], -v[54:55]
	v_mul_f64 v[12:13], v[82:83], v[22:23]
	v_mul_f64 v[14:15], v[82:83], v[20:21]
	;; [unrolled: 1-line block ×4, first 2 shown]
	v_fma_f64 v[36:37], v[64:65], v[36:37], v[56:57]
	v_fma_f64 v[38:39], v[64:65], v[38:39], -v[58:59]
	v_fma_f64 v[66:67], v[80:81], v[20:21], v[12:13]
	v_fma_f64 v[70:71], v[80:81], v[22:23], -v[14:15]
	v_add_f64 v[20:21], v[8:9], v[44:45]
	v_add_f64 v[22:23], v[10:11], v[46:47]
	v_add_f64 v[8:9], v[8:9], -v[44:45]
	v_add_f64 v[10:11], v[10:11], -v[46:47]
	v_add_f64 v[44:45], v[16:17], v[40:41]
	v_add_f64 v[46:47], v[18:19], v[42:43]
	v_add_f64 v[16:17], v[16:17], -v[40:41]
	v_add_f64 v[18:19], v[18:19], -v[42:43]
	;; [unrolled: 4-line block ×3, first 2 shown]
	v_add_f64 v[32:33], v[44:45], v[20:21]
	v_add_f64 v[34:35], v[46:47], v[22:23]
	v_fma_f64 v[28:29], v[76:77], v[28:29], v[52:53]
	v_fma_f64 v[30:31], v[76:77], v[30:31], -v[54:55]
	v_fma_f64 v[52:53], v[231:232], v[140:141], v[60:61]
	v_fma_f64 v[54:55], v[231:232], v[142:143], -v[62:63]
	v_add_f64 v[56:57], v[44:45], -v[20:21]
	v_add_f64 v[58:59], v[46:47], -v[22:23]
	;; [unrolled: 1-line block ×6, first 2 shown]
	v_add_f64 v[60:61], v[24:25], v[16:17]
	v_add_f64 v[62:63], v[26:27], v[18:19]
	v_add_f64 v[64:65], v[24:25], -v[16:17]
	v_add_f64 v[68:69], v[26:27], -v[18:19]
	v_add_f64 v[32:33], v[40:41], v[32:33]
	v_add_f64 v[34:35], v[42:43], v[34:35]
	v_add_f64 v[16:17], v[16:17], -v[8:9]
	v_add_f64 v[18:19], v[18:19], -v[10:11]
	;; [unrolled: 1-line block ×4, first 2 shown]
	v_add_f64 v[8:9], v[60:61], v[8:9]
	v_add_f64 v[10:11], v[62:63], v[10:11]
	;; [unrolled: 1-line block ×4, first 2 shown]
	v_mul_f64 v[20:21], v[20:21], s[8:9]
	v_mul_f64 v[22:23], v[22:23], s[8:9]
	;; [unrolled: 1-line block ×10, first 2 shown]
	v_fma_f64 v[32:33], v[32:33], s[18:19], v[0:1]
	v_fma_f64 v[34:35], v[34:35], s[18:19], v[2:3]
	;; [unrolled: 1-line block ×4, first 2 shown]
	v_fma_f64 v[40:41], v[56:57], s[20:21], -v[40:41]
	v_fma_f64 v[42:43], v[58:59], s[20:21], -v[42:43]
	;; [unrolled: 1-line block ×4, first 2 shown]
	v_fma_f64 v[56:57], v[24:25], s[24:25], v[60:61]
	v_fma_f64 v[58:59], v[26:27], s[24:25], v[62:63]
	v_fma_f64 v[16:17], v[16:17], s[10:11], -v[60:61]
	v_fma_f64 v[18:19], v[18:19], s[10:11], -v[62:63]
	;; [unrolled: 1-line block ×4, first 2 shown]
	v_add_f64 v[44:45], v[44:45], v[32:33]
	v_add_f64 v[46:47], v[46:47], v[34:35]
	;; [unrolled: 1-line block ×6, first 2 shown]
	v_fma_f64 v[60:61], v[8:9], s[26:27], v[24:25]
	v_fma_f64 v[26:27], v[10:11], s[26:27], v[26:27]
	;; [unrolled: 1-line block ×5, first 2 shown]
	v_fma_f64 v[64:65], v[220:221], v[150:151], -v[14:15]
	v_fma_f64 v[58:59], v[10:11], s[26:27], v[58:59]
	v_fma_f64 v[56:57], v[8:9], s[26:27], v[56:57]
	v_add_f64 v[14:15], v[34:35], -v[60:61]
	v_add_f64 v[12:13], v[26:27], v[32:33]
	v_add_f64 v[16:17], v[40:41], -v[20:21]
	v_add_f64 v[18:19], v[22:23], v[42:43]
	v_add_f64 v[20:21], v[20:21], v[40:41]
	v_add_f64 v[22:23], v[42:43], -v[22:23]
	v_add_f64 v[24:25], v[32:33], -v[26:27]
	v_add_f64 v[26:27], v[60:61], v[34:35]
	v_add_f64 v[32:33], v[48:49], v[62:63]
	v_add_f64 v[34:35], v[50:51], v[64:65]
	v_add_f64 v[40:41], v[48:49], -v[62:63]
	v_add_f64 v[42:43], v[50:51], -v[64:65]
	v_add_f64 v[48:49], v[66:67], v[52:53]
	v_add_f64 v[50:51], v[70:71], v[54:55]
	v_add_f64 v[52:53], v[66:67], -v[52:53]
	v_add_f64 v[54:55], v[70:71], -v[54:55]
	v_add_f64 v[60:61], v[28:29], v[36:37]
	v_add_f64 v[62:63], v[30:31], v[38:39]
	;; [unrolled: 4-line block ×3, first 2 shown]
	v_add_f64 v[64:65], v[48:49], -v[32:33]
	v_add_f64 v[66:67], v[50:51], -v[34:35]
	;; [unrolled: 1-line block ×6, first 2 shown]
	v_add_f64 v[68:69], v[28:29], v[52:53]
	v_add_f64 v[70:71], v[30:31], v[54:55]
	v_add_f64 v[72:73], v[28:29], -v[52:53]
	v_add_f64 v[74:75], v[30:31], -v[54:55]
	v_add_f64 v[36:37], v[60:61], v[36:37]
	v_add_f64 v[38:39], v[62:63], v[38:39]
	v_add_f64 v[52:53], v[52:53], -v[40:41]
	v_add_f64 v[54:55], v[54:55], -v[42:43]
	;; [unrolled: 1-line block ×4, first 2 shown]
	v_add_f64 v[40:41], v[68:69], v[40:41]
	v_add_f64 v[42:43], v[70:71], v[42:43]
	v_add_f64 v[4:5], v[4:5], v[36:37]
	v_add_f64 v[6:7], v[6:7], v[38:39]
	v_mul_f64 v[32:33], v[32:33], s[8:9]
	v_mul_f64 v[34:35], v[34:35], s[8:9]
	;; [unrolled: 1-line block ×8, first 2 shown]
	v_fma_f64 v[36:37], v[36:37], s[18:19], v[4:5]
	v_fma_f64 v[38:39], v[38:39], s[18:19], v[6:7]
	;; [unrolled: 1-line block ×4, first 2 shown]
	v_fma_f64 v[60:61], v[64:65], s[20:21], -v[60:61]
	v_fma_f64 v[62:63], v[66:67], s[20:21], -v[62:63]
	;; [unrolled: 1-line block ×4, first 2 shown]
	v_fma_f64 v[64:65], v[28:29], s[24:25], v[68:69]
	v_fma_f64 v[66:67], v[30:31], s[24:25], v[70:71]
	v_fma_f64 v[52:53], v[52:53], s[10:11], -v[68:69]
	v_fma_f64 v[54:55], v[54:55], s[10:11], -v[70:71]
	;; [unrolled: 1-line block ×4, first 2 shown]
	v_add_f64 v[68:69], v[48:49], v[36:37]
	v_add_f64 v[70:71], v[50:51], v[38:39]
	;; [unrolled: 1-line block ×6, first 2 shown]
	v_fma_f64 v[66:67], v[42:43], s[26:27], v[66:67]
	v_fma_f64 v[64:65], v[40:41], s[26:27], v[64:65]
	;; [unrolled: 1-line block ×6, first 2 shown]
	v_add_f64 v[8:9], v[58:59], v[44:45]
	v_add_f64 v[10:11], v[46:47], -v[56:57]
	v_add_f64 v[28:29], v[44:45], -v[58:59]
	v_add_f64 v[30:31], v[56:57], v[46:47]
	v_add_f64 v[32:33], v[66:67], v[68:69]
	v_add_f64 v[34:35], v[70:71], -v[64:65]
	v_add_f64 v[36:37], v[72:73], v[60:61]
	v_add_f64 v[38:39], v[62:63], -v[74:75]
	v_add_f64 v[40:41], v[48:49], -v[54:55]
	v_add_f64 v[42:43], v[52:53], v[50:51]
	v_add_f64 v[44:45], v[54:55], v[48:49]
	v_add_f64 v[46:47], v[50:51], -v[52:53]
	v_add_f64 v[48:49], v[60:61], -v[72:73]
	v_add_f64 v[50:51], v[74:75], v[62:63]
	v_add_f64 v[52:53], v[68:69], -v[66:67]
	v_add_f64 v[54:55], v[64:65], v[70:71]
	ds_write_b128 v235, v[0:3]
	ds_write_b128 v235, v[8:11] offset:544
	ds_write_b128 v235, v[12:15] offset:1088
	;; [unrolled: 1-line block ×6, first 2 shown]
	ds_write_b128 v236, v[4:7]
	ds_write_b128 v236, v[32:35] offset:544
	ds_write_b128 v236, v[36:39] offset:1088
	;; [unrolled: 1-line block ×6, first 2 shown]
	s_waitcnt lgkmcnt(0)
	s_barrier
	ds_read_b128 v[0:3], v218
	ds_read_b128 v[4:7], v218 offset:1904
	ds_read_b128 v[8:11], v218 offset:3808
	ds_read_b128 v[12:15], v218 offset:5712
	ds_read_b128 v[16:19], v218 offset:7616
	ds_read_b128 v[20:23], v218 offset:9520
	ds_read_b128 v[24:27], v218 offset:11424
	ds_read_b128 v[28:31], v218 offset:13328
	ds_read_b128 v[32:35], v218 offset:15232
	ds_read_b128 v[36:39], v218 offset:17136
	ds_read_b128 v[40:43], v218 offset:19040
	ds_read_b128 v[44:47], v218 offset:20944
	s_waitcnt lgkmcnt(9)
	v_mul_f64 v[56:57], v[106:107], v[10:11]
	v_mul_f64 v[58:59], v[106:107], v[8:9]
	s_waitcnt lgkmcnt(7)
	v_mul_f64 v[60:61], v[102:103], v[18:19]
	v_mul_f64 v[62:63], v[102:103], v[16:17]
	;; [unrolled: 3-line block ×3, first 2 shown]
	ds_read_b128 v[48:51], v218 offset:22848
	ds_read_b128 v[52:55], v218 offset:24752
	v_mul_f64 v[68:69], v[130:131], v[14:15]
	v_fma_f64 v[8:9], v[104:105], v[8:9], v[56:57]
	v_fma_f64 v[10:11], v[104:105], v[10:11], -v[58:59]
	v_fma_f64 v[16:17], v[100:101], v[16:17], v[60:61]
	v_fma_f64 v[18:19], v[100:101], v[18:19], -v[62:63]
	v_fma_f64 v[24:25], v[96:97], v[24:25], v[64:65]
	v_fma_f64 v[26:27], v[96:97], v[26:27], -v[66:67]
	s_waitcnt lgkmcnt(5)
	v_mul_f64 v[56:57], v[90:91], v[34:35]
	v_mul_f64 v[58:59], v[90:91], v[32:33]
	s_waitcnt lgkmcnt(3)
	v_mul_f64 v[60:61], v[114:115], v[42:43]
	v_mul_f64 v[62:63], v[114:115], v[40:41]
	s_waitcnt lgkmcnt(1)
	v_mul_f64 v[64:65], v[110:111], v[50:51]
	v_mul_f64 v[66:67], v[110:111], v[48:49]
	v_mul_f64 v[70:71], v[130:131], v[12:13]
	v_fma_f64 v[32:33], v[88:89], v[32:33], v[56:57]
	v_fma_f64 v[34:35], v[88:89], v[34:35], -v[58:59]
	v_fma_f64 v[40:41], v[112:113], v[40:41], v[60:61]
	v_fma_f64 v[42:43], v[112:113], v[42:43], -v[62:63]
	;; [unrolled: 2-line block ×4, first 2 shown]
	v_mul_f64 v[12:13], v[126:127], v[22:23]
	v_mul_f64 v[14:15], v[126:127], v[20:21]
	;; [unrolled: 1-line block ×8, first 2 shown]
	v_fma_f64 v[72:73], v[124:125], v[20:21], v[12:13]
	v_fma_f64 v[74:75], v[124:125], v[22:23], -v[14:15]
	v_add_f64 v[20:21], v[8:9], v[48:49]
	v_add_f64 v[22:23], v[10:11], v[50:51]
	v_add_f64 v[8:9], v[8:9], -v[48:49]
	v_add_f64 v[10:11], v[10:11], -v[50:51]
	v_add_f64 v[48:49], v[16:17], v[40:41]
	v_add_f64 v[50:51], v[18:19], v[42:43]
	v_add_f64 v[16:17], v[16:17], -v[40:41]
	v_add_f64 v[18:19], v[18:19], -v[42:43]
	;; [unrolled: 4-line block ×3, first 2 shown]
	v_add_f64 v[32:33], v[48:49], v[20:21]
	v_add_f64 v[34:35], v[50:51], v[22:23]
	v_fma_f64 v[28:29], v[120:121], v[28:29], v[60:61]
	v_fma_f64 v[30:31], v[120:121], v[30:31], -v[62:63]
	v_fma_f64 v[36:37], v[116:117], v[36:37], v[64:65]
	v_fma_f64 v[38:39], v[116:117], v[38:39], -v[66:67]
	;; [unrolled: 2-line block ×3, first 2 shown]
	v_add_f64 v[60:61], v[48:49], -v[20:21]
	v_add_f64 v[62:63], v[50:51], -v[22:23]
	;; [unrolled: 1-line block ×6, first 2 shown]
	v_add_f64 v[64:65], v[24:25], v[16:17]
	v_add_f64 v[66:67], v[26:27], v[18:19]
	v_add_f64 v[68:69], v[24:25], -v[16:17]
	v_add_f64 v[70:71], v[26:27], -v[18:19]
	v_add_f64 v[32:33], v[40:41], v[32:33]
	v_add_f64 v[34:35], v[42:43], v[34:35]
	v_add_f64 v[16:17], v[16:17], -v[8:9]
	v_add_f64 v[18:19], v[18:19], -v[10:11]
	;; [unrolled: 1-line block ×4, first 2 shown]
	v_add_f64 v[8:9], v[64:65], v[8:9]
	v_add_f64 v[10:11], v[66:67], v[10:11]
	;; [unrolled: 1-line block ×4, first 2 shown]
	v_mul_f64 v[20:21], v[20:21], s[8:9]
	v_mul_f64 v[22:23], v[22:23], s[8:9]
	;; [unrolled: 1-line block ×8, first 2 shown]
	s_waitcnt lgkmcnt(0)
	v_mul_f64 v[12:13], v[94:95], v[54:55]
	v_mul_f64 v[14:15], v[94:95], v[52:53]
	v_fma_f64 v[32:33], v[32:33], s[18:19], v[0:1]
	v_fma_f64 v[34:35], v[34:35], s[18:19], v[2:3]
	;; [unrolled: 1-line block ×4, first 2 shown]
	v_fma_f64 v[40:41], v[60:61], s[20:21], -v[40:41]
	v_fma_f64 v[42:43], v[62:63], s[20:21], -v[42:43]
	;; [unrolled: 1-line block ×4, first 2 shown]
	v_fma_f64 v[60:61], v[24:25], s[24:25], v[64:65]
	v_fma_f64 v[62:63], v[26:27], s[24:25], v[66:67]
	v_fma_f64 v[16:17], v[16:17], s[10:11], -v[64:65]
	v_fma_f64 v[18:19], v[18:19], s[10:11], -v[66:67]
	;; [unrolled: 1-line block ×4, first 2 shown]
	v_add_f64 v[48:49], v[48:49], v[32:33]
	v_add_f64 v[50:51], v[50:51], v[34:35]
	;; [unrolled: 1-line block ×6, first 2 shown]
	v_fma_f64 v[64:65], v[8:9], s[26:27], v[24:25]
	v_fma_f64 v[26:27], v[10:11], s[26:27], v[26:27]
	v_fma_f64 v[20:21], v[10:11], s[26:27], v[18:19]
	v_fma_f64 v[22:23], v[8:9], s[26:27], v[16:17]
	v_fma_f64 v[52:53], v[92:93], v[52:53], v[12:13]
	v_fma_f64 v[54:55], v[92:93], v[54:55], -v[14:15]
	v_fma_f64 v[62:63], v[10:11], s[26:27], v[62:63]
	v_fma_f64 v[60:61], v[8:9], s[26:27], v[60:61]
	v_add_f64 v[14:15], v[34:35], -v[64:65]
	v_add_f64 v[12:13], v[26:27], v[32:33]
	v_add_f64 v[16:17], v[40:41], -v[20:21]
	v_add_f64 v[18:19], v[22:23], v[42:43]
	v_add_f64 v[20:21], v[20:21], v[40:41]
	v_add_f64 v[22:23], v[42:43], -v[22:23]
	v_add_f64 v[24:25], v[32:33], -v[26:27]
	v_add_f64 v[26:27], v[64:65], v[34:35]
	v_add_f64 v[32:33], v[56:57], v[52:53]
	;; [unrolled: 1-line block ×3, first 2 shown]
	v_add_f64 v[40:41], v[56:57], -v[52:53]
	v_add_f64 v[42:43], v[58:59], -v[54:55]
	v_add_f64 v[52:53], v[72:73], v[44:45]
	v_add_f64 v[54:55], v[74:75], v[46:47]
	v_add_f64 v[44:45], v[72:73], -v[44:45]
	v_add_f64 v[46:47], v[74:75], -v[46:47]
	v_add_f64 v[56:57], v[28:29], v[36:37]
	v_add_f64 v[58:59], v[30:31], v[38:39]
	;; [unrolled: 4-line block ×3, first 2 shown]
	v_add_f64 v[64:65], v[52:53], -v[32:33]
	v_add_f64 v[66:67], v[54:55], -v[34:35]
	;; [unrolled: 1-line block ×6, first 2 shown]
	v_add_f64 v[68:69], v[28:29], v[44:45]
	v_add_f64 v[70:71], v[30:31], v[46:47]
	v_add_f64 v[72:73], v[28:29], -v[44:45]
	v_add_f64 v[74:75], v[30:31], -v[46:47]
	v_add_f64 v[36:37], v[56:57], v[36:37]
	v_add_f64 v[38:39], v[58:59], v[38:39]
	v_add_f64 v[44:45], v[44:45], -v[40:41]
	v_add_f64 v[46:47], v[46:47], -v[42:43]
	v_add_f64 v[28:29], v[40:41], -v[28:29]
	v_add_f64 v[30:31], v[42:43], -v[30:31]
	v_add_f64 v[40:41], v[68:69], v[40:41]
	v_add_f64 v[42:43], v[70:71], v[42:43]
	v_add_f64 v[4:5], v[4:5], v[36:37]
	v_add_f64 v[6:7], v[6:7], v[38:39]
	v_mul_f64 v[32:33], v[32:33], s[8:9]
	v_mul_f64 v[34:35], v[34:35], s[8:9]
	;; [unrolled: 1-line block ×8, first 2 shown]
	v_fma_f64 v[36:37], v[36:37], s[18:19], v[4:5]
	v_fma_f64 v[38:39], v[38:39], s[18:19], v[6:7]
	;; [unrolled: 1-line block ×4, first 2 shown]
	v_fma_f64 v[56:57], v[64:65], s[20:21], -v[56:57]
	v_fma_f64 v[58:59], v[66:67], s[20:21], -v[58:59]
	v_fma_f64 v[32:33], v[64:65], s[22:23], -v[32:33]
	v_fma_f64 v[34:35], v[66:67], s[22:23], -v[34:35]
	v_fma_f64 v[64:65], v[28:29], s[24:25], v[68:69]
	v_fma_f64 v[66:67], v[30:31], s[24:25], v[70:71]
	v_fma_f64 v[44:45], v[44:45], s[10:11], -v[68:69]
	v_fma_f64 v[46:47], v[46:47], s[10:11], -v[70:71]
	;; [unrolled: 1-line block ×4, first 2 shown]
	v_add_f64 v[52:53], v[52:53], v[36:37]
	v_add_f64 v[54:55], v[54:55], v[38:39]
	v_add_f64 v[56:57], v[56:57], v[36:37]
	v_add_f64 v[58:59], v[58:59], v[38:39]
	v_add_f64 v[68:69], v[32:33], v[36:37]
	v_add_f64 v[70:71], v[34:35], v[38:39]
	v_fma_f64 v[66:67], v[42:43], s[26:27], v[66:67]
	v_fma_f64 v[64:65], v[40:41], s[26:27], v[64:65]
	;; [unrolled: 1-line block ×6, first 2 shown]
	v_add_f64 v[8:9], v[62:63], v[48:49]
	v_add_f64 v[10:11], v[50:51], -v[60:61]
	v_add_f64 v[28:29], v[48:49], -v[62:63]
	v_add_f64 v[30:31], v[60:61], v[50:51]
	v_add_f64 v[32:33], v[66:67], v[52:53]
	v_add_f64 v[34:35], v[54:55], -v[64:65]
	v_add_f64 v[36:37], v[72:73], v[68:69]
	v_add_f64 v[38:39], v[70:71], -v[74:75]
	v_add_f64 v[40:41], v[56:57], -v[46:47]
	v_add_f64 v[42:43], v[76:77], v[58:59]
	v_add_f64 v[44:45], v[46:47], v[56:57]
	v_add_f64 v[46:47], v[58:59], -v[76:77]
	v_add_f64 v[48:49], v[68:69], -v[72:73]
	v_add_f64 v[50:51], v[74:75], v[70:71]
	v_add_f64 v[52:53], v[52:53], -v[66:67]
	v_add_f64 v[54:55], v[64:65], v[54:55]
	ds_write_b128 v218, v[0:3]
	ds_write_b128 v218, v[8:11] offset:3808
	ds_write_b128 v218, v[12:15] offset:7616
	;; [unrolled: 1-line block ×13, first 2 shown]
	s_waitcnt lgkmcnt(0)
	s_barrier
	s_and_b64 exec, exec, s[0:1]
	s_cbranch_execz .LBB0_15
; %bb.14:
	global_load_dwordx4 v[0:3], v249, s[12:13]
	ds_read_b128 v[4:7], v218
	ds_read_b128 v[8:11], v219 offset:1568
	v_mad_u64_u32 v[12:13], s[0:1], s6, v250, 0
	v_mad_u64_u32 v[14:15], s[0:1], s4, v251, 0
	s_mul_i32 s3, s5, 0x620
	s_mul_i32 s2, s4, 0x620
	v_mad_u64_u32 v[18:19], s[0:1], s7, v250, v[13:14]
	v_mov_b32_e32 v13, v18
	s_waitcnt vmcnt(0) lgkmcnt(1)
	v_mul_f64 v[16:17], v[6:7], v[2:3]
	v_mul_f64 v[2:3], v[4:5], v[2:3]
	v_fma_f64 v[4:5], v[4:5], v[0:1], v[16:17]
	v_fma_f64 v[2:3], v[0:1], v[6:7], -v[2:3]
	v_mad_u64_u32 v[19:20], s[0:1], s5, v251, v[15:16]
	s_mov_b32 s0, 0xca869b81
	s_mov_b32 s1, 0x3f43ab2d
	v_lshlrev_b64 v[6:7], 4, v[12:13]
	v_mov_b32_e32 v15, v19
	v_mul_f64 v[0:1], v[4:5], s[0:1]
	v_mul_f64 v[2:3], v[2:3], s[0:1]
	v_mov_b32_e32 v16, s15
	v_lshlrev_b64 v[12:13], 4, v[14:15]
	v_add_co_u32_e32 v4, vcc, s14, v6
	v_addc_co_u32_e32 v5, vcc, v16, v7, vcc
	v_add_co_u32_e32 v4, vcc, v4, v12
	v_addc_co_u32_e32 v5, vcc, v5, v13, vcc
	global_store_dwordx4 v[4:5], v[0:3], off
	global_load_dwordx4 v[0:3], v249, s[12:13] offset:1568
	s_mul_hi_u32 s5, s4, 0x620
	s_add_i32 s3, s5, s3
	v_add_co_u32_e32 v12, vcc, s2, v4
	v_mov_b32_e32 v16, s13
	s_movk_i32 s4, 0x1000
	s_waitcnt vmcnt(0) lgkmcnt(0)
	v_mul_f64 v[6:7], v[10:11], v[2:3]
	v_mul_f64 v[2:3], v[8:9], v[2:3]
	v_fma_f64 v[6:7], v[8:9], v[0:1], v[6:7]
	v_fma_f64 v[2:3], v[0:1], v[10:11], -v[2:3]
	v_mul_f64 v[0:1], v[6:7], s[0:1]
	v_mul_f64 v[2:3], v[2:3], s[0:1]
	v_mov_b32_e32 v6, s3
	v_addc_co_u32_e32 v13, vcc, v5, v6, vcc
	global_store_dwordx4 v[12:13], v[0:3], off
	global_load_dwordx4 v[0:3], v249, s[12:13] offset:3136
	ds_read_b128 v[4:7], v219 offset:3136
	ds_read_b128 v[8:11], v219 offset:4704
	s_waitcnt vmcnt(0) lgkmcnt(1)
	v_mul_f64 v[14:15], v[6:7], v[2:3]
	v_mul_f64 v[2:3], v[4:5], v[2:3]
	v_fma_f64 v[4:5], v[4:5], v[0:1], v[14:15]
	v_fma_f64 v[6:7], v[0:1], v[6:7], -v[2:3]
	v_add_co_u32_e32 v0, vcc, s12, v249
	v_addc_co_u32_e32 v1, vcc, 0, v16, vcc
	v_add_co_u32_e32 v14, vcc, s4, v0
	v_mul_f64 v[2:3], v[4:5], s[0:1]
	v_mul_f64 v[4:5], v[6:7], s[0:1]
	v_addc_co_u32_e32 v15, vcc, 0, v1, vcc
	v_mov_b32_e32 v16, s3
	v_add_co_u32_e32 v6, vcc, s2, v12
	v_addc_co_u32_e32 v7, vcc, v13, v16, vcc
	global_store_dwordx4 v[6:7], v[2:5], off
	global_load_dwordx4 v[2:5], v[14:15], off offset:608
	v_add_co_u32_e32 v16, vcc, s2, v6
	s_movk_i32 s4, 0x2000
	s_waitcnt vmcnt(0) lgkmcnt(0)
	v_mul_f64 v[12:13], v[10:11], v[4:5]
	v_mul_f64 v[4:5], v[8:9], v[4:5]
	v_fma_f64 v[8:9], v[8:9], v[2:3], v[12:13]
	v_fma_f64 v[4:5], v[2:3], v[10:11], -v[4:5]
	v_mul_f64 v[2:3], v[8:9], s[0:1]
	v_mul_f64 v[4:5], v[4:5], s[0:1]
	v_mov_b32_e32 v8, s3
	v_addc_co_u32_e32 v17, vcc, v7, v8, vcc
	global_store_dwordx4 v[16:17], v[2:5], off
	global_load_dwordx4 v[2:5], v[14:15], off offset:2176
	ds_read_b128 v[6:9], v219 offset:6272
	ds_read_b128 v[10:13], v219 offset:7840
	s_waitcnt vmcnt(0) lgkmcnt(1)
	v_mul_f64 v[18:19], v[8:9], v[4:5]
	v_mul_f64 v[4:5], v[6:7], v[4:5]
	v_fma_f64 v[6:7], v[6:7], v[2:3], v[18:19]
	v_fma_f64 v[4:5], v[2:3], v[8:9], -v[4:5]
	v_mul_f64 v[2:3], v[6:7], s[0:1]
	v_mul_f64 v[4:5], v[4:5], s[0:1]
	v_mov_b32_e32 v7, s3
	v_add_co_u32_e32 v6, vcc, s2, v16
	v_addc_co_u32_e32 v7, vcc, v17, v7, vcc
	global_store_dwordx4 v[6:7], v[2:5], off
	global_load_dwordx4 v[2:5], v[14:15], off offset:3744
	v_add_co_u32_e32 v14, vcc, s4, v0
	v_addc_co_u32_e32 v15, vcc, 0, v1, vcc
	v_add_co_u32_e32 v16, vcc, s2, v6
	s_movk_i32 s4, 0x3000
	s_waitcnt vmcnt(0) lgkmcnt(0)
	v_mul_f64 v[8:9], v[12:13], v[4:5]
	v_mul_f64 v[4:5], v[10:11], v[4:5]
	v_fma_f64 v[8:9], v[10:11], v[2:3], v[8:9]
	v_fma_f64 v[4:5], v[2:3], v[12:13], -v[4:5]
	v_mov_b32_e32 v10, s3
	v_addc_co_u32_e32 v17, vcc, v7, v10, vcc
	v_mul_f64 v[2:3], v[8:9], s[0:1]
	v_mul_f64 v[4:5], v[4:5], s[0:1]
	global_store_dwordx4 v[16:17], v[2:5], off
	global_load_dwordx4 v[2:5], v[14:15], off offset:1216
	ds_read_b128 v[6:9], v219 offset:9408
	ds_read_b128 v[10:13], v219 offset:10976
	s_waitcnt vmcnt(0) lgkmcnt(1)
	v_mul_f64 v[18:19], v[8:9], v[4:5]
	v_mul_f64 v[4:5], v[6:7], v[4:5]
	v_fma_f64 v[6:7], v[6:7], v[2:3], v[18:19]
	v_fma_f64 v[4:5], v[2:3], v[8:9], -v[4:5]
	v_mul_f64 v[2:3], v[6:7], s[0:1]
	v_mul_f64 v[4:5], v[4:5], s[0:1]
	v_mov_b32_e32 v7, s3
	v_add_co_u32_e32 v6, vcc, s2, v16
	v_addc_co_u32_e32 v7, vcc, v17, v7, vcc
	global_store_dwordx4 v[6:7], v[2:5], off
	global_load_dwordx4 v[2:5], v[14:15], off offset:2784
	v_add_co_u32_e32 v14, vcc, s4, v0
	v_addc_co_u32_e32 v15, vcc, 0, v1, vcc
	v_add_co_u32_e32 v16, vcc, s2, v6
	s_movk_i32 s4, 0x4000
	s_waitcnt vmcnt(0) lgkmcnt(0)
	v_mul_f64 v[8:9], v[12:13], v[4:5]
	v_mul_f64 v[4:5], v[10:11], v[4:5]
	v_fma_f64 v[8:9], v[10:11], v[2:3], v[8:9]
	v_fma_f64 v[4:5], v[2:3], v[12:13], -v[4:5]
	v_mov_b32_e32 v10, s3
	v_addc_co_u32_e32 v17, vcc, v7, v10, vcc
	v_mul_f64 v[2:3], v[8:9], s[0:1]
	v_mul_f64 v[4:5], v[4:5], s[0:1]
	global_store_dwordx4 v[16:17], v[2:5], off
	global_load_dwordx4 v[2:5], v[14:15], off offset:256
	ds_read_b128 v[6:9], v219 offset:12544
	ds_read_b128 v[10:13], v219 offset:14112
	s_waitcnt vmcnt(0) lgkmcnt(1)
	v_mul_f64 v[18:19], v[8:9], v[4:5]
	v_mul_f64 v[4:5], v[6:7], v[4:5]
	v_fma_f64 v[6:7], v[6:7], v[2:3], v[18:19]
	v_fma_f64 v[4:5], v[2:3], v[8:9], -v[4:5]
	v_mul_f64 v[2:3], v[6:7], s[0:1]
	v_mul_f64 v[4:5], v[4:5], s[0:1]
	v_mov_b32_e32 v7, s3
	v_add_co_u32_e32 v6, vcc, s2, v16
	v_addc_co_u32_e32 v7, vcc, v17, v7, vcc
	v_add_co_u32_e32 v16, vcc, s2, v6
	global_store_dwordx4 v[6:7], v[2:5], off
	global_load_dwordx4 v[2:5], v[14:15], off offset:1824
	s_waitcnt vmcnt(0) lgkmcnt(0)
	v_mul_f64 v[8:9], v[12:13], v[4:5]
	v_mul_f64 v[4:5], v[10:11], v[4:5]
	v_fma_f64 v[8:9], v[10:11], v[2:3], v[8:9]
	v_fma_f64 v[4:5], v[2:3], v[12:13], -v[4:5]
	v_mul_f64 v[2:3], v[8:9], s[0:1]
	v_mul_f64 v[4:5], v[4:5], s[0:1]
	v_mov_b32_e32 v8, s3
	v_addc_co_u32_e32 v17, vcc, v7, v8, vcc
	global_store_dwordx4 v[16:17], v[2:5], off
	global_load_dwordx4 v[2:5], v[14:15], off offset:3392
	ds_read_b128 v[6:9], v219 offset:15680
	ds_read_b128 v[10:13], v219 offset:17248
	s_waitcnt vmcnt(0) lgkmcnt(1)
	v_mul_f64 v[14:15], v[8:9], v[4:5]
	v_mul_f64 v[4:5], v[6:7], v[4:5]
	v_fma_f64 v[6:7], v[6:7], v[2:3], v[14:15]
	v_fma_f64 v[4:5], v[2:3], v[8:9], -v[4:5]
	v_add_co_u32_e32 v14, vcc, s4, v0
	v_addc_co_u32_e32 v15, vcc, 0, v1, vcc
	v_mov_b32_e32 v8, s3
	s_movk_i32 s4, 0x5000
	v_mul_f64 v[2:3], v[6:7], s[0:1]
	v_mul_f64 v[4:5], v[4:5], s[0:1]
	v_add_co_u32_e32 v6, vcc, s2, v16
	v_addc_co_u32_e32 v7, vcc, v17, v8, vcc
	v_add_co_u32_e32 v16, vcc, s2, v6
	global_store_dwordx4 v[6:7], v[2:5], off
	global_load_dwordx4 v[2:5], v[14:15], off offset:864
	s_waitcnt vmcnt(0) lgkmcnt(0)
	v_mul_f64 v[8:9], v[12:13], v[4:5]
	v_mul_f64 v[4:5], v[10:11], v[4:5]
	v_fma_f64 v[8:9], v[10:11], v[2:3], v[8:9]
	v_fma_f64 v[4:5], v[2:3], v[12:13], -v[4:5]
	v_mul_f64 v[2:3], v[8:9], s[0:1]
	v_mul_f64 v[4:5], v[4:5], s[0:1]
	v_mov_b32_e32 v8, s3
	v_addc_co_u32_e32 v17, vcc, v7, v8, vcc
	global_store_dwordx4 v[16:17], v[2:5], off
	global_load_dwordx4 v[2:5], v[14:15], off offset:2432
	ds_read_b128 v[6:9], v219 offset:18816
	ds_read_b128 v[10:13], v219 offset:20384
	s_waitcnt vmcnt(0) lgkmcnt(1)
	v_mul_f64 v[18:19], v[8:9], v[4:5]
	v_mul_f64 v[4:5], v[6:7], v[4:5]
	v_fma_f64 v[6:7], v[6:7], v[2:3], v[18:19]
	v_fma_f64 v[4:5], v[2:3], v[8:9], -v[4:5]
	v_mul_f64 v[2:3], v[6:7], s[0:1]
	v_mul_f64 v[4:5], v[4:5], s[0:1]
	v_mov_b32_e32 v7, s3
	v_add_co_u32_e32 v6, vcc, s2, v16
	v_addc_co_u32_e32 v7, vcc, v17, v7, vcc
	global_store_dwordx4 v[6:7], v[2:5], off
	global_load_dwordx4 v[2:5], v[14:15], off offset:4000
	v_add_co_u32_e32 v14, vcc, s4, v0
	v_addc_co_u32_e32 v15, vcc, 0, v1, vcc
	v_add_co_u32_e32 v16, vcc, s2, v6
	s_movk_i32 s4, 0x6000
	s_waitcnt vmcnt(0) lgkmcnt(0)
	v_mul_f64 v[8:9], v[12:13], v[4:5]
	v_mul_f64 v[4:5], v[10:11], v[4:5]
	v_fma_f64 v[8:9], v[10:11], v[2:3], v[8:9]
	v_fma_f64 v[4:5], v[2:3], v[12:13], -v[4:5]
	v_mov_b32_e32 v10, s3
	v_addc_co_u32_e32 v17, vcc, v7, v10, vcc
	v_mul_f64 v[2:3], v[8:9], s[0:1]
	v_mul_f64 v[4:5], v[4:5], s[0:1]
	global_store_dwordx4 v[16:17], v[2:5], off
	global_load_dwordx4 v[2:5], v[14:15], off offset:1472
	ds_read_b128 v[6:9], v219 offset:21952
	ds_read_b128 v[10:13], v219 offset:23520
	s_waitcnt vmcnt(0) lgkmcnt(1)
	v_mul_f64 v[18:19], v[8:9], v[4:5]
	v_mul_f64 v[4:5], v[6:7], v[4:5]
	v_fma_f64 v[6:7], v[6:7], v[2:3], v[18:19]
	v_fma_f64 v[4:5], v[2:3], v[8:9], -v[4:5]
	v_mul_f64 v[2:3], v[6:7], s[0:1]
	v_mul_f64 v[4:5], v[4:5], s[0:1]
	v_mov_b32_e32 v7, s3
	v_add_co_u32_e32 v6, vcc, s2, v16
	v_addc_co_u32_e32 v7, vcc, v17, v7, vcc
	v_add_co_u32_e32 v0, vcc, s4, v0
	global_store_dwordx4 v[6:7], v[2:5], off
	global_load_dwordx4 v[2:5], v[14:15], off offset:3040
	v_addc_co_u32_e32 v1, vcc, 0, v1, vcc
	s_waitcnt vmcnt(0) lgkmcnt(0)
	v_mul_f64 v[8:9], v[12:13], v[4:5]
	v_mul_f64 v[4:5], v[10:11], v[4:5]
	v_fma_f64 v[8:9], v[10:11], v[2:3], v[8:9]
	v_fma_f64 v[4:5], v[2:3], v[12:13], -v[4:5]
	v_mov_b32_e32 v10, s3
	v_mul_f64 v[2:3], v[8:9], s[0:1]
	v_mul_f64 v[4:5], v[4:5], s[0:1]
	v_add_co_u32_e32 v8, vcc, s2, v6
	v_addc_co_u32_e32 v9, vcc, v7, v10, vcc
	global_store_dwordx4 v[8:9], v[2:5], off
	global_load_dwordx4 v[0:3], v[0:1], off offset:512
	ds_read_b128 v[4:7], v219 offset:25088
	s_waitcnt vmcnt(0) lgkmcnt(0)
	v_mul_f64 v[10:11], v[6:7], v[2:3]
	v_mul_f64 v[2:3], v[4:5], v[2:3]
	v_fma_f64 v[4:5], v[4:5], v[0:1], v[10:11]
	v_fma_f64 v[2:3], v[0:1], v[6:7], -v[2:3]
	v_mul_f64 v[0:1], v[4:5], s[0:1]
	v_mul_f64 v[2:3], v[2:3], s[0:1]
	v_mov_b32_e32 v5, s3
	v_add_co_u32_e32 v4, vcc, s2, v8
	v_addc_co_u32_e32 v5, vcc, v9, v5, vcc
	global_store_dwordx4 v[4:5], v[0:3], off
.LBB0_15:
	s_endpgm
	.section	.rodata,"a",@progbits
	.p2align	6, 0x0
	.amdhsa_kernel bluestein_single_back_len1666_dim1_dp_op_CI_CI
		.amdhsa_group_segment_fixed_size 26656
		.amdhsa_private_segment_fixed_size 564
		.amdhsa_kernarg_size 104
		.amdhsa_user_sgpr_count 6
		.amdhsa_user_sgpr_private_segment_buffer 1
		.amdhsa_user_sgpr_dispatch_ptr 0
		.amdhsa_user_sgpr_queue_ptr 0
		.amdhsa_user_sgpr_kernarg_segment_ptr 1
		.amdhsa_user_sgpr_dispatch_id 0
		.amdhsa_user_sgpr_flat_scratch_init 0
		.amdhsa_user_sgpr_private_segment_size 0
		.amdhsa_uses_dynamic_stack 0
		.amdhsa_system_sgpr_private_segment_wavefront_offset 1
		.amdhsa_system_sgpr_workgroup_id_x 1
		.amdhsa_system_sgpr_workgroup_id_y 0
		.amdhsa_system_sgpr_workgroup_id_z 0
		.amdhsa_system_sgpr_workgroup_info 0
		.amdhsa_system_vgpr_workitem_id 0
		.amdhsa_next_free_vgpr 256
		.amdhsa_next_free_sgpr 68
		.amdhsa_reserve_vcc 1
		.amdhsa_reserve_flat_scratch 0
		.amdhsa_float_round_mode_32 0
		.amdhsa_float_round_mode_16_64 0
		.amdhsa_float_denorm_mode_32 3
		.amdhsa_float_denorm_mode_16_64 3
		.amdhsa_dx10_clamp 1
		.amdhsa_ieee_mode 1
		.amdhsa_fp16_overflow 0
		.amdhsa_exception_fp_ieee_invalid_op 0
		.amdhsa_exception_fp_denorm_src 0
		.amdhsa_exception_fp_ieee_div_zero 0
		.amdhsa_exception_fp_ieee_overflow 0
		.amdhsa_exception_fp_ieee_underflow 0
		.amdhsa_exception_fp_ieee_inexact 0
		.amdhsa_exception_int_div_zero 0
	.end_amdhsa_kernel
	.text
.Lfunc_end0:
	.size	bluestein_single_back_len1666_dim1_dp_op_CI_CI, .Lfunc_end0-bluestein_single_back_len1666_dim1_dp_op_CI_CI
                                        ; -- End function
	.section	.AMDGPU.csdata,"",@progbits
; Kernel info:
; codeLenInByte = 31596
; NumSgprs: 72
; NumVgprs: 256
; ScratchSize: 564
; MemoryBound: 0
; FloatMode: 240
; IeeeMode: 1
; LDSByteSize: 26656 bytes/workgroup (compile time only)
; SGPRBlocks: 8
; VGPRBlocks: 63
; NumSGPRsForWavesPerEU: 72
; NumVGPRsForWavesPerEU: 256
; Occupancy: 1
; WaveLimiterHint : 1
; COMPUTE_PGM_RSRC2:SCRATCH_EN: 1
; COMPUTE_PGM_RSRC2:USER_SGPR: 6
; COMPUTE_PGM_RSRC2:TRAP_HANDLER: 0
; COMPUTE_PGM_RSRC2:TGID_X_EN: 1
; COMPUTE_PGM_RSRC2:TGID_Y_EN: 0
; COMPUTE_PGM_RSRC2:TGID_Z_EN: 0
; COMPUTE_PGM_RSRC2:TIDIG_COMP_CNT: 0
	.type	__hip_cuid_da5bcc65b5395e3,@object ; @__hip_cuid_da5bcc65b5395e3
	.section	.bss,"aw",@nobits
	.globl	__hip_cuid_da5bcc65b5395e3
__hip_cuid_da5bcc65b5395e3:
	.byte	0                               ; 0x0
	.size	__hip_cuid_da5bcc65b5395e3, 1

	.ident	"AMD clang version 19.0.0git (https://github.com/RadeonOpenCompute/llvm-project roc-6.4.0 25133 c7fe45cf4b819c5991fe208aaa96edf142730f1d)"
	.section	".note.GNU-stack","",@progbits
	.addrsig
	.addrsig_sym __hip_cuid_da5bcc65b5395e3
	.amdgpu_metadata
---
amdhsa.kernels:
  - .args:
      - .actual_access:  read_only
        .address_space:  global
        .offset:         0
        .size:           8
        .value_kind:     global_buffer
      - .actual_access:  read_only
        .address_space:  global
        .offset:         8
        .size:           8
        .value_kind:     global_buffer
      - .actual_access:  read_only
        .address_space:  global
        .offset:         16
        .size:           8
        .value_kind:     global_buffer
      - .actual_access:  read_only
        .address_space:  global
        .offset:         24
        .size:           8
        .value_kind:     global_buffer
      - .actual_access:  read_only
        .address_space:  global
        .offset:         32
        .size:           8
        .value_kind:     global_buffer
      - .offset:         40
        .size:           8
        .value_kind:     by_value
      - .address_space:  global
        .offset:         48
        .size:           8
        .value_kind:     global_buffer
      - .address_space:  global
        .offset:         56
        .size:           8
        .value_kind:     global_buffer
      - .address_space:  global
        .offset:         64
        .size:           8
        .value_kind:     global_buffer
      - .address_space:  global
        .offset:         72
        .size:           8
        .value_kind:     global_buffer
      - .offset:         80
        .size:           4
        .value_kind:     by_value
      - .address_space:  global
        .offset:         88
        .size:           8
        .value_kind:     global_buffer
      - .address_space:  global
        .offset:         96
        .size:           8
        .value_kind:     global_buffer
    .group_segment_fixed_size: 26656
    .kernarg_segment_align: 8
    .kernarg_segment_size: 104
    .language:       OpenCL C
    .language_version:
      - 2
      - 0
    .max_flat_workgroup_size: 119
    .name:           bluestein_single_back_len1666_dim1_dp_op_CI_CI
    .private_segment_fixed_size: 564
    .sgpr_count:     72
    .sgpr_spill_count: 0
    .symbol:         bluestein_single_back_len1666_dim1_dp_op_CI_CI.kd
    .uniform_work_group_size: 1
    .uses_dynamic_stack: false
    .vgpr_count:     256
    .vgpr_spill_count: 177
    .wavefront_size: 64
amdhsa.target:   amdgcn-amd-amdhsa--gfx906
amdhsa.version:
  - 1
  - 2
...

	.end_amdgpu_metadata
